;; amdgpu-corpus repo=ROCm/rocFFT kind=compiled arch=gfx950 opt=O3
	.text
	.amdgcn_target "amdgcn-amd-amdhsa--gfx950"
	.amdhsa_code_object_version 6
	.protected	bluestein_single_fwd_len2401_dim1_half_op_CI_CI ; -- Begin function bluestein_single_fwd_len2401_dim1_half_op_CI_CI
	.globl	bluestein_single_fwd_len2401_dim1_half_op_CI_CI
	.p2align	8
	.type	bluestein_single_fwd_len2401_dim1_half_op_CI_CI,@function
bluestein_single_fwd_len2401_dim1_half_op_CI_CI: ; @bluestein_single_fwd_len2401_dim1_half_op_CI_CI
; %bb.0:
	s_load_dwordx4 s[4:7], s[0:1], 0x28
	v_mul_u32_u24_e32 v1, 0x53a, v0
	v_add_u32_sdwa v22, s2, v1 dst_sel:DWORD dst_unused:UNUSED_PAD src0_sel:DWORD src1_sel:WORD_1
	v_mov_b32_e32 v23, 0
	s_waitcnt lgkmcnt(0)
	v_cmp_gt_u64_e32 vcc, s[4:5], v[22:23]
	s_and_saveexec_b64 s[2:3], vcc
	s_cbranch_execz .LBB0_2
; %bb.1:
	s_load_dwordx4 s[12:15], s[0:1], 0x18
	s_load_dwordx4 s[8:11], s[0:1], 0x0
	v_mov_b32_e32 v2, s6
	v_mov_b32_e32 v3, s7
	;; [unrolled: 1-line block ×3, first 2 shown]
	s_waitcnt lgkmcnt(0)
	s_load_dwordx4 s[4:7], s[14:15], 0x0
	v_mul_lo_u16_sdwa v1, v1, v4 dst_sel:DWORD dst_unused:UNUSED_PAD src0_sel:WORD_1 src1_sel:DWORD
	s_load_dwordx4 s[12:15], s[12:13], 0x0
	v_sub_u16_e32 v108, v0, v1
	v_mov_b32_e32 v153, 0x55c
	s_waitcnt lgkmcnt(0)
	v_mad_u64_u32 v[4:5], s[2:3], s6, v22, 0
	v_mov_b32_e32 v0, v5
	v_mad_u64_u32 v[0:1], s[2:3], s7, v22, v[0:1]
	v_accvgpr_write_b32 a36, v0
	v_mad_u64_u32 v[0:1], s[2:3], s14, v22, 0
	v_accvgpr_write_b32 a34, v4
	v_mov_b32_e32 v4, v1
	v_mad_u64_u32 v[4:5], s[2:3], s15, v22, v[4:5]
	v_mov_b32_e32 v1, v4
	v_mad_u64_u32 v[4:5], s[2:3], s12, v108, 0
	;; [unrolled: 2-line block ×3, first 2 shown]
	v_mov_b32_e32 v5, v6
	v_lshl_add_u64 v[0:1], v[0:1], 2, v[2:3]
	v_lshl_add_u64 v[0:1], v[4:5], 2, v[0:1]
	global_load_dword v6, v[0:1], off
	v_lshlrev_b32_e32 v22, 2, v108
	v_mad_u64_u32 v[0:1], s[2:3], s12, v153, v[0:1]
	global_load_dword v169, v22, s[8:9]
	s_mul_i32 s2, s13, 0x55c
	v_add_u32_e32 v1, s2, v1
	global_load_dword v7, v[0:1], off
	global_load_dword v203, v22, s[8:9] offset:1372
	v_mad_u64_u32 v[0:1], s[6:7], s12, v153, v[0:1]
	v_add_u32_e32 v1, s2, v1
	global_load_dword v8, v[0:1], off
	global_load_dword v177, v22, s[8:9] offset:2744
	v_mad_u64_u32 v[2:3], s[6:7], s12, v153, v[0:1]
	s_movk_i32 s3, 0x1000
	v_lshl_add_u64 v[88:89], s[8:9], 0, v[22:23]
	v_add_u32_e32 v3, s2, v3
	v_add_co_u32_e32 v0, vcc, s3, v88
	global_load_dword v4, v[2:3], off
	s_nop 0
	v_addc_co_u32_e32 v1, vcc, 0, v89, vcc
	global_load_dword v181, v[0:1], off offset:20
	v_mad_u64_u32 v[2:3], s[6:7], s12, v153, v[2:3]
	v_add_u32_e32 v3, s2, v3
	global_load_dword v5, v[2:3], off
	global_load_dword v185, v[0:1], off offset:1392
	v_mad_u64_u32 v[2:3], s[6:7], s12, v153, v[2:3]
	v_add_u32_e32 v3, s2, v3
	global_load_dword v25, v22, s[8:9] offset:2940
	global_load_dword v189, v22, s[8:9] offset:196
	;; [unrolled: 1-line block ×6, first 2 shown]
	global_load_dword v9, v[2:3], off
	global_load_dword v183, v22, s[8:9] offset:1568
	global_load_dword v32, v22, s[8:9] offset:1764
	;; [unrolled: 1-line block ×7, first 2 shown]
	global_load_dword v167, v[0:1], off offset:2764
	s_movk_i32 s3, 0x2000
	v_mad_u64_u32 v[2:3], s[6:7], s12, v153, v[2:3]
	v_add_u32_e32 v3, s2, v3
	v_add_co_u32_e32 v100, vcc, s3, v88
	global_load_dword v10, v[2:3], off
	s_nop 0
	v_addc_co_u32_e32 v101, vcc, 0, v89, vcc
	global_load_dword v225, v[100:101], off offset:40
	s_mul_i32 s3, s13, 0xffffe09c
	s_sub_i32 s3, s3, s12
	v_mov_b32_e32 v20, 0xffffe09c
	v_add_u32_e32 v159, 0x400, v22
	v_add_u32_e32 v175, 0x1000, v22
	;; [unrolled: 1-line block ×9, first 2 shown]
	v_mov_b64_e32 v[212:213], v[22:23]
	s_movk_i32 s13, 0x3b00
	v_mul_lo_u16_e32 v106, 7, v108
	v_lshlrev_b32_e32 v221, 2, v106
	s_mov_b32 s14, 0
	v_mov_b32_e32 v109, s14
	s_mov_b64 s[14:15], 0x62
	s_load_dwordx2 s[0:1], s[0:1], 0x38
	s_waitcnt vmcnt(26)
	v_lshrrev_b32_e32 v11, 16, v6
	s_waitcnt vmcnt(25)
	v_mul_f16_sdwa v12, v169, v6 dst_sel:DWORD dst_unused:UNUSED_PAD src0_sel:WORD_1 src1_sel:DWORD
	v_mul_f16_sdwa v13, v169, v11 dst_sel:DWORD dst_unused:UNUSED_PAD src0_sel:WORD_1 src1_sel:DWORD
	v_fma_f16 v11, v169, v11, -v12
	v_fma_f16 v6, v169, v6, v13
	s_waitcnt vmcnt(24)
	v_lshrrev_b32_e32 v12, 16, v7
	s_waitcnt vmcnt(23)
	v_mul_f16_sdwa v13, v203, v7 dst_sel:DWORD dst_unused:UNUSED_PAD src0_sel:WORD_1 src1_sel:DWORD
	v_pack_b32_f16 v6, v6, v11
	v_mul_f16_sdwa v11, v203, v12 dst_sel:DWORD dst_unused:UNUSED_PAD src0_sel:WORD_1 src1_sel:DWORD
	v_fma_f16 v12, v203, v12, -v13
	v_fma_f16 v7, v203, v7, v11
	s_waitcnt vmcnt(22)
	v_lshrrev_b32_e32 v11, 16, v8
	s_waitcnt vmcnt(21)
	v_mul_f16_sdwa v13, v177, v8 dst_sel:DWORD dst_unused:UNUSED_PAD src0_sel:WORD_1 src1_sel:DWORD
	v_pack_b32_f16 v7, v7, v12
	v_mul_f16_sdwa v12, v177, v11 dst_sel:DWORD dst_unused:UNUSED_PAD src0_sel:WORD_1 src1_sel:DWORD
	v_fma_f16 v11, v177, v11, -v13
	ds_write_b32 v22, v7 offset:1372
	v_fma_f16 v7, v177, v8, v12
	v_pack_b32_f16 v7, v7, v11
	ds_write_b32 v22, v7 offset:2744
	v_mov_b32_e32 v7, 0xffffe09c
	v_mad_u64_u32 v[2:3], s[6:7], s12, v7, v[2:3]
	v_add_u32_e32 v3, s3, v3
	global_load_dword v7, v[2:3], off
	global_load_dword v199, v[0:1], off offset:216
	global_load_dword v47, v[0:1], off offset:412
	;; [unrolled: 1-line block ×6, first 2 shown]
	v_mad_u64_u32 v[2:3], s[6:7], s12, v153, v[2:3]
	s_waitcnt vmcnt(27)
	v_lshrrev_b32_e32 v8, 16, v4
	v_add_u32_e32 v3, s2, v3
	s_waitcnt vmcnt(26)
	v_mul_f16_sdwa v11, v181, v8 dst_sel:DWORD dst_unused:UNUSED_PAD src0_sel:WORD_1 src1_sel:DWORD
	global_load_dword v12, v[2:3], off
	v_fma_f16 v11, v181, v4, v11
	v_mul_f16_sdwa v4, v181, v4 dst_sel:DWORD dst_unused:UNUSED_PAD src0_sel:WORD_1 src1_sel:DWORD
	v_mad_u64_u32 v[2:3], s[6:7], s12, v153, v[2:3]
	v_fma_f16 v4, v181, v8, -v4
	v_add_u32_e32 v3, s2, v3
	v_pack_b32_f16 v4, v11, v4
	global_load_dword v11, v[2:3], off
	v_mad_u64_u32 v[2:3], s[6:7], s12, v153, v[2:3]
	v_add_u32_e32 v3, s2, v3
	ds_write_b32 v22, v4 offset:4116
	s_waitcnt vmcnt(27)
	v_lshrrev_b32_e32 v4, 16, v5
	global_load_dword v13, v[2:3], off
	s_waitcnt vmcnt(27)
	v_mul_f16_sdwa v8, v185, v4 dst_sel:DWORD dst_unused:UNUSED_PAD src0_sel:WORD_1 src1_sel:DWORD
	v_mad_u64_u32 v[2:3], s[6:7], s12, v153, v[2:3]
	v_fma_f16 v8, v185, v5, v8
	v_mul_f16_sdwa v5, v185, v5 dst_sel:DWORD dst_unused:UNUSED_PAD src0_sel:WORD_1 src1_sel:DWORD
	v_add_u32_e32 v3, s2, v3
	v_fma_f16 v4, v185, v4, -v5
	global_load_dword v5, v[2:3], off
	global_load_dword v197, v[0:1], off offset:1588
	v_pack_b32_f16 v4, v8, v4
	v_mad_u64_u32 v[2:3], s[6:7], s12, v153, v[2:3]
	ds_write_b32 v22, v4 offset:5488
	v_add_u32_e32 v3, s2, v3
	global_load_dword v8, v[2:3], off
	global_load_dword v195, v[0:1], off offset:2960
	v_mad_u64_u32 v[2:3], s[6:7], s12, v153, v[2:3]
	v_add_u32_e32 v3, s2, v3
	s_waitcnt vmcnt(24)
	v_lshrrev_b32_e32 v4, 16, v9
	global_load_dword v14, v[2:3], off
	global_load_dword v46, v[0:1], off offset:1784
	global_load_dword v41, v[0:1], off offset:1980
	;; [unrolled: 1-line block ×6, first 2 shown]
	s_waitcnt vmcnt(23)
	v_mul_f16_sdwa v15, v167, v4 dst_sel:DWORD dst_unused:UNUSED_PAD src0_sel:WORD_1 src1_sel:DWORD
	v_mad_u64_u32 v[2:3], s[6:7], s12, v20, v[2:3]
	v_fma_f16 v15, v167, v9, v15
	v_mul_f16_sdwa v9, v167, v9 dst_sel:DWORD dst_unused:UNUSED_PAD src0_sel:WORD_1 src1_sel:DWORD
	v_add_u32_e32 v3, s3, v3
	v_fma_f16 v4, v167, v4, -v9
	global_load_dword v9, v[2:3], off
	v_pack_b32_f16 v4, v15, v4
	v_mad_u64_u32 v[2:3], s[6:7], s12, v153, v[2:3]
	ds_write_b32 v22, v4 offset:6860
	s_waitcnt vmcnt(23)
	v_lshrrev_b32_e32 v4, 16, v10
	v_add_u32_e32 v3, s2, v3
	global_load_dword v15, v[2:3], off
	global_load_dword v45, v[100:101], off offset:432
	global_load_dword v40, v[0:1], off offset:3156
	;; [unrolled: 1-line block ×6, first 2 shown]
	s_waitcnt vmcnt(29)
	v_mul_f16_sdwa v0, v225, v4 dst_sel:DWORD dst_unused:UNUSED_PAD src0_sel:WORD_1 src1_sel:DWORD
	v_mul_f16_sdwa v1, v225, v10 dst_sel:DWORD dst_unused:UNUSED_PAD src0_sel:WORD_1 src1_sel:DWORD
	v_fma_f16 v0, v225, v10, v0
	v_fma_f16 v1, v225, v4, -v1
	v_pack_b32_f16 v4, v0, v1
	v_mad_u64_u32 v[0:1], s[6:7], s12, v153, v[2:3]
	v_add_u32_e32 v1, s2, v1
	global_load_dword v2, v[0:1], off
	global_load_dword v236, v22, s[8:9] offset:3136
	ds_write_b32 v22, v4 offset:8232
	v_mad_u64_u32 v[0:1], s[6:7], s12, v153, v[0:1]
	v_add_u32_e32 v1, s2, v1
	v_accvgpr_write_b32 a33, v25
	v_accvgpr_write_b32 a60, v32
	;; [unrolled: 1-line block ×3, first 2 shown]
	s_waitcnt vmcnt(30)
	v_lshrrev_b32_e32 v3, 16, v7
	v_mul_f16_sdwa v4, v189, v3 dst_sel:DWORD dst_unused:UNUSED_PAD src0_sel:WORD_1 src1_sel:DWORD
	v_fma_f16 v4, v189, v7, v4
	v_mul_f16_sdwa v7, v189, v7 dst_sel:DWORD dst_unused:UNUSED_PAD src0_sel:WORD_1 src1_sel:DWORD
	v_fma_f16 v3, v189, v3, -v7
	v_pack_b32_f16 v3, v4, v3
	ds_write2_b32 v22, v6, v3 offset1:49
	global_load_dword v6, v[0:1], off
	v_mad_u64_u32 v[0:1], s[6:7], s12, v153, v[0:1]
	v_add_u32_e32 v1, s2, v1
	s_waitcnt vmcnt(25)
	v_accvgpr_write_b32 a3, v19
	s_waitcnt vmcnt(24)
	v_lshrrev_b32_e32 v3, 16, v12
	v_mul_f16_sdwa v4, v183, v3 dst_sel:DWORD dst_unused:UNUSED_PAD src0_sel:WORD_1 src1_sel:DWORD
	v_mul_f16_sdwa v7, v183, v12 dst_sel:DWORD dst_unused:UNUSED_PAD src0_sel:WORD_1 src1_sel:DWORD
	v_fma_f16 v4, v183, v12, v4
	v_fma_f16 v3, v183, v3, -v7
	v_pack_b32_f16 v3, v4, v3
	v_accvgpr_write_b32 a13, v31
	v_accvgpr_write_b32 a12, v29
	s_waitcnt vmcnt(23)
	v_lshrrev_b32_e32 v4, 16, v11
	v_mul_f16_sdwa v7, v25, v4 dst_sel:DWORD dst_unused:UNUSED_PAD src0_sel:WORD_1 src1_sel:DWORD
	v_mul_f16_sdwa v10, v25, v11 dst_sel:DWORD dst_unused:UNUSED_PAD src0_sel:WORD_1 src1_sel:DWORD
	v_fma_f16 v7, v25, v11, v7
	v_fma_f16 v4, v25, v4, -v10
	v_pack_b32_f16 v4, v7, v4
	s_waitcnt vmcnt(22)
	v_lshrrev_b32_e32 v7, 16, v13
	v_mul_f16_sdwa v10, v199, v7 dst_sel:DWORD dst_unused:UNUSED_PAD src0_sel:WORD_1 src1_sel:DWORD
	v_mul_f16_sdwa v11, v199, v13 dst_sel:DWORD dst_unused:UNUSED_PAD src0_sel:WORD_1 src1_sel:DWORD
	v_fma_f16 v10, v199, v13, v10
	v_fma_f16 v7, v199, v7, -v11
	v_pack_b32_f16 v7, v10, v7
	global_load_dword v11, v[0:1], off
	v_mad_u64_u32 v[0:1], s[6:7], s12, v153, v[0:1]
	s_waitcnt vmcnt(22)
	v_lshrrev_b32_e32 v10, 16, v5
	s_waitcnt vmcnt(21)
	v_mul_f16_sdwa v12, v197, v10 dst_sel:DWORD dst_unused:UNUSED_PAD src0_sel:WORD_1 src1_sel:DWORD
	v_fma_f16 v12, v197, v5, v12
	v_mul_f16_sdwa v5, v197, v5 dst_sel:DWORD dst_unused:UNUSED_PAD src0_sel:WORD_1 src1_sel:DWORD
	v_fma_f16 v5, v197, v10, -v5
	s_waitcnt vmcnt(20)
	v_lshrrev_b32_e32 v10, 16, v8
	v_pack_b32_f16 v5, v12, v5
	s_waitcnt vmcnt(19)
	v_mul_f16_sdwa v12, v195, v10 dst_sel:DWORD dst_unused:UNUSED_PAD src0_sel:WORD_1 src1_sel:DWORD
	v_fma_f16 v12, v195, v8, v12
	v_mul_f16_sdwa v8, v195, v8 dst_sel:DWORD dst_unused:UNUSED_PAD src0_sel:WORD_1 src1_sel:DWORD
	v_fma_f16 v8, v195, v10, -v8
	v_add_u32_e32 v1, s2, v1
	v_pack_b32_f16 v8, v12, v8
	global_load_dword v12, v[0:1], off
	s_waitcnt vmcnt(19)
	v_lshrrev_b32_e32 v10, 16, v14
	s_waitcnt vmcnt(13)
	v_mul_f16_sdwa v13, v187, v10 dst_sel:DWORD dst_unused:UNUSED_PAD src0_sel:WORD_1 src1_sel:DWORD
	v_fma_f16 v13, v187, v14, v13
	v_mul_f16_sdwa v14, v187, v14 dst_sel:DWORD dst_unused:UNUSED_PAD src0_sel:WORD_1 src1_sel:DWORD
	v_mad_u64_u32 v[0:1], s[6:7], s12, v153, v[0:1]
	v_fma_f16 v10, v187, v10, -v14
	v_add_u32_e32 v1, s2, v1
	v_pack_b32_f16 v10, v13, v10
	s_waitcnt vmcnt(12)
	v_lshrrev_b32_e32 v13, 16, v9
	v_mov_b32_e32 v25, v16
	global_load_dword v16, v[0:1], off
	v_mul_f16_sdwa v14, v25, v13 dst_sel:DWORD dst_unused:UNUSED_PAD src0_sel:WORD_1 src1_sel:DWORD
	v_fma_f16 v14, v25, v9, v14
	v_mul_f16_sdwa v9, v25, v9 dst_sel:DWORD dst_unused:UNUSED_PAD src0_sel:WORD_1 src1_sel:DWORD
	v_fma_f16 v9, v25, v13, -v9
	s_waitcnt vmcnt(12)
	v_lshrrev_b32_e32 v13, 16, v15
	v_pack_b32_f16 v9, v14, v9
	v_mul_f16_sdwa v14, v32, v13 dst_sel:DWORD dst_unused:UNUSED_PAD src0_sel:WORD_1 src1_sel:DWORD
	v_fma_f16 v14, v32, v15, v14
	v_mul_f16_sdwa v15, v32, v15 dst_sel:DWORD dst_unused:UNUSED_PAD src0_sel:WORD_1 src1_sel:DWORD
	v_mad_u64_u32 v[0:1], s[6:7], s12, v20, v[0:1]
	v_fma_f16 v13, v32, v13, -v15
	v_add_u32_e32 v1, s3, v1
	v_pack_b32_f16 v13, v14, v13
	global_load_dword v14, v[0:1], off
	ds_write2_b32 v159, v3, v13 offset0:136 offset1:185
	s_waitcnt vmcnt(6)
	v_lshrrev_b32_e32 v3, 16, v2
	s_waitcnt vmcnt(5)
	v_mul_f16_sdwa v13, v236, v3 dst_sel:DWORD dst_unused:UNUSED_PAD src0_sel:WORD_1 src1_sel:DWORD
	v_mad_u64_u32 v[0:1], s[6:7], s12, v153, v[0:1]
	v_fma_f16 v13, v236, v2, v13
	v_mul_f16_sdwa v2, v236, v2 dst_sel:DWORD dst_unused:UNUSED_PAD src0_sel:WORD_1 src1_sel:DWORD
	v_add_u32_e32 v1, s2, v1
	v_accvgpr_write_b32 a32, v25
	global_load_dword v44, v22, s[8:9] offset:3332
	global_load_dword v39, v22, s[8:9] offset:3528
	;; [unrolled: 1-line block ×4, first 2 shown]
	v_fma_f16 v2, v236, v3, -v2
	global_load_dword v3, v[0:1], off
	v_mad_u64_u32 v[0:1], s[6:7], s12, v153, v[0:1]
	v_pack_b32_f16 v2, v13, v2
	v_add_u32_e32 v13, 0xa00, v22
	v_add_u32_e32 v1, s2, v1
	ds_write2_b32 v13, v4, v2 offset0:95 offset1:144
	v_mov_b32_e32 v158, v13
	global_load_dword v13, v[0:1], off
	s_waitcnt vmcnt(10)
	v_lshrrev_b32_e32 v2, 16, v6
	v_mul_f16_sdwa v4, v47, v2 dst_sel:DWORD dst_unused:UNUSED_PAD src0_sel:WORD_1 src1_sel:DWORD
	v_mad_u64_u32 v[0:1], s[6:7], s12, v153, v[0:1]
	v_fma_f16 v4, v47, v6, v4
	v_mul_f16_sdwa v6, v47, v6 dst_sel:DWORD dst_unused:UNUSED_PAD src0_sel:WORD_1 src1_sel:DWORD
	v_add_u32_e32 v1, s2, v1
	v_fma_f16 v2, v47, v2, -v6
	global_load_dword v6, v[0:1], off
	v_mad_u64_u32 v[0:1], s[6:7], s12, v153, v[0:1]
	v_add_u32_e32 v1, s2, v1
	v_pack_b32_f16 v2, v4, v2
	global_load_dword v4, v[0:1], off
	v_mad_u64_u32 v[0:1], s[6:7], s12, v153, v[0:1]
	v_add_u32_e32 v1, s2, v1
	ds_write2_b32 v175, v7, v2 offset0:54 offset1:103
	s_waitcnt vmcnt(11)
	v_lshrrev_b32_e32 v2, 16, v11
	global_load_dword v7, v[0:1], off
	v_mul_f16_sdwa v15, v46, v2 dst_sel:DWORD dst_unused:UNUSED_PAD src0_sel:WORD_1 src1_sel:DWORD
	v_mad_u64_u32 v[0:1], s[6:7], s12, v153, v[0:1]
	v_fma_f16 v15, v46, v11, v15
	v_mul_f16_sdwa v11, v46, v11 dst_sel:DWORD dst_unused:UNUSED_PAD src0_sel:WORD_1 src1_sel:DWORD
	v_add_u32_e32 v1, s2, v1
	v_fma_f16 v2, v46, v2, -v11
	global_load_dword v11, v[0:1], off
	v_accvgpr_write_b32 a30, v46
	v_pack_b32_f16 v2, v15, v2
	v_mov_b32_e32 v46, v40
	global_load_dword v40, v[100:101], off offset:628
	v_mad_u64_u32 v[0:1], s[6:7], s12, v20, v[0:1]
	ds_write2_b32 v163, v5, v2 offset0:141 offset1:190
	s_waitcnt vmcnt(13)
	v_lshrrev_b32_e32 v2, 16, v12
	v_add_u32_e32 v1, s3, v1
	v_mul_f16_sdwa v5, v46, v2 dst_sel:DWORD dst_unused:UNUSED_PAD src0_sel:WORD_1 src1_sel:DWORD
	global_load_dword v15, v[0:1], off
	v_fma_f16 v5, v46, v12, v5
	v_mul_f16_sdwa v12, v46, v12 dst_sel:DWORD dst_unused:UNUSED_PAD src0_sel:WORD_1 src1_sel:DWORD
	v_fma_f16 v2, v46, v2, -v12
	v_mad_u64_u32 v[0:1], s[6:7], s12, v153, v[0:1]
	v_pack_b32_f16 v2, v5, v2
	v_add_u32_e32 v5, 0x1a00, v22
	v_add_u32_e32 v1, s2, v1
	v_accvgpr_write_b32 a29, v46
	ds_write2_b32 v5, v8, v2 offset0:100 offset1:149
	v_mov_b32_e32 v46, v5
	global_load_dword v5, v[0:1], off
	s_waitcnt vmcnt(14)
	v_lshrrev_b32_e32 v2, 16, v16
	v_mul_f16_sdwa v8, v45, v2 dst_sel:DWORD dst_unused:UNUSED_PAD src0_sel:WORD_1 src1_sel:DWORD
	v_mul_f16_sdwa v12, v45, v16 dst_sel:DWORD dst_unused:UNUSED_PAD src0_sel:WORD_1 src1_sel:DWORD
	v_mad_u64_u32 v[0:1], s[6:7], s12, v153, v[0:1]
	v_fma_f16 v8, v45, v16, v8
	v_fma_f16 v2, v45, v2, -v12
	v_add_u32_e32 v1, s2, v1
	v_pack_b32_f16 v2, v8, v2
	global_load_dword v8, v[0:1], off
	v_mad_u64_u32 v[0:1], s[6:7], s12, v153, v[0:1]
	ds_write2_b32 v209, v10, v2 offset0:59 offset1:108
	s_waitcnt vmcnt(14)
	v_lshrrev_b32_e32 v2, 16, v14
	v_mul_f16_sdwa v12, v30, v14 dst_sel:DWORD dst_unused:UNUSED_PAD src0_sel:WORD_1 src1_sel:DWORD
	v_add_u32_e32 v1, s2, v1
	v_mul_f16_sdwa v10, v30, v2 dst_sel:DWORD dst_unused:UNUSED_PAD src0_sel:WORD_1 src1_sel:DWORD
	v_fma_f16 v2, v30, v2, -v12
	global_load_dword v12, v[0:1], off
	v_fma_f16 v10, v30, v14, v10
	v_pack_b32_f16 v2, v10, v2
	ds_write2_b32 v22, v9, v2 offset0:98 offset1:147
	s_waitcnt vmcnt(10)
	v_lshrrev_b32_e32 v2, 16, v3
	v_mul_f16_sdwa v9, v43, v2 dst_sel:DWORD dst_unused:UNUSED_PAD src0_sel:WORD_1 src1_sel:DWORD
	v_mad_u64_u32 v[0:1], s[6:7], s12, v153, v[0:1]
	v_fma_f16 v9, v43, v3, v9
	v_mul_f16_sdwa v3, v43, v3 dst_sel:DWORD dst_unused:UNUSED_PAD src0_sel:WORD_1 src1_sel:DWORD
	v_add_u32_e32 v1, s2, v1
	v_fma_f16 v2, v43, v2, -v3
	global_load_dword v3, v[0:1], off
	v_pack_b32_f16 v2, v9, v2
	s_waitcnt vmcnt(10)
	v_lshrrev_b32_e32 v9, 16, v13
	v_mul_f16_sdwa v10, v44, v9 dst_sel:DWORD dst_unused:UNUSED_PAD src0_sel:WORD_1 src1_sel:DWORD
	v_fma_f16 v10, v44, v13, v10
	v_mul_f16_sdwa v13, v44, v13 dst_sel:DWORD dst_unused:UNUSED_PAD src0_sel:WORD_1 src1_sel:DWORD
	v_fma_f16 v9, v44, v9, -v13
	v_pack_b32_f16 v9, v10, v9
	s_waitcnt vmcnt(9)
	v_lshrrev_b32_e32 v10, 16, v6
	v_mul_f16_sdwa v13, v42, v10 dst_sel:DWORD dst_unused:UNUSED_PAD src0_sel:WORD_1 src1_sel:DWORD
	v_fma_f16 v13, v42, v6, v13
	v_mul_f16_sdwa v6, v42, v6 dst_sel:DWORD dst_unused:UNUSED_PAD src0_sel:WORD_1 src1_sel:DWORD
	v_fma_f16 v6, v42, v10, -v6
	s_waitcnt vmcnt(8)
	v_lshrrev_b32_e32 v10, 16, v4
	v_pack_b32_f16 v6, v13, v6
	v_mul_f16_sdwa v13, v41, v10 dst_sel:DWORD dst_unused:UNUSED_PAD src0_sel:WORD_1 src1_sel:DWORD
	v_fma_f16 v13, v41, v4, v13
	v_mul_f16_sdwa v4, v41, v4 dst_sel:DWORD dst_unused:UNUSED_PAD src0_sel:WORD_1 src1_sel:DWORD
	v_mad_u64_u32 v[0:1], s[6:7], s12, v153, v[0:1]
	v_fma_f16 v4, v41, v10, -v4
	s_waitcnt vmcnt(7)
	v_lshrrev_b32_e32 v10, 16, v7
	v_add_u32_e32 v1, s2, v1
	v_pack_b32_f16 v4, v13, v4
	global_load_dword v13, v[0:1], off
	v_mul_f16_sdwa v14, v38, v10 dst_sel:DWORD dst_unused:UNUSED_PAD src0_sel:WORD_1 src1_sel:DWORD
	v_fma_f16 v14, v38, v7, v14
	v_mul_f16_sdwa v7, v38, v7 dst_sel:DWORD dst_unused:UNUSED_PAD src0_sel:WORD_1 src1_sel:DWORD
	v_fma_f16 v7, v38, v10, -v7
	s_waitcnt vmcnt(7)
	v_lshrrev_b32_e32 v10, 16, v11
	v_pack_b32_f16 v7, v14, v7
	s_waitcnt vmcnt(6)
	v_mul_f16_sdwa v14, v40, v10 dst_sel:DWORD dst_unused:UNUSED_PAD src0_sel:WORD_1 src1_sel:DWORD
	v_fma_f16 v14, v40, v11, v14
	v_mul_f16_sdwa v11, v40, v11 dst_sel:DWORD dst_unused:UNUSED_PAD src0_sel:WORD_1 src1_sel:DWORD
	v_fma_f16 v10, v40, v10, -v11
	v_pack_b32_f16 v10, v14, v10
	v_mad_u64_u32 v[0:1], s[6:7], s12, v153, v[0:1]
	s_waitcnt vmcnt(5)
	v_lshrrev_b32_e32 v11, 16, v15
	v_mul_f16_sdwa v14, v35, v11 dst_sel:DWORD dst_unused:UNUSED_PAD src0_sel:WORD_1 src1_sel:DWORD
	v_fma_f16 v14, v35, v15, v14
	v_mul_f16_sdwa v15, v35, v15 dst_sel:DWORD dst_unused:UNUSED_PAD src0_sel:WORD_1 src1_sel:DWORD
	v_add_u32_e32 v1, s2, v1
	v_fma_f16 v11, v35, v11, -v15
	v_accvgpr_write_b32 a22, v38
	global_load_dword v38, v[100:101], off offset:824
	global_load_dword v30, v[100:101], off offset:1020
	;; [unrolled: 1-line block ×3, first 2 shown]
	global_load_dword v16, v[0:1], off
	v_pack_b32_f16 v11, v14, v11
	v_accvgpr_write_b32 a2, v18
	s_waitcnt vmcnt(8)
	v_lshrrev_b32_e32 v14, 16, v5
	v_mul_f16_sdwa v15, v37, v14 dst_sel:DWORD dst_unused:UNUSED_PAD src0_sel:WORD_1 src1_sel:DWORD
	v_fma_f16 v15, v37, v5, v15
	v_mul_f16_sdwa v5, v37, v5 dst_sel:DWORD dst_unused:UNUSED_PAD src0_sel:WORD_1 src1_sel:DWORD
	v_fma_f16 v5, v37, v14, -v5
	v_pack_b32_f16 v5, v15, v5
	v_mov_b32_e32 v15, 0xffffe09c
	v_mad_u64_u32 v[0:1], s[6:7], s12, v15, v[0:1]
	v_add_u32_e32 v1, s3, v1
	global_load_dword v14, v[0:1], off
	ds_write2_b32 v173, v2, v5 offset0:106 offset1:155
	s_waitcnt vmcnt(8)
	v_lshrrev_b32_e32 v2, 16, v8
	v_mul_f16_sdwa v5, v39, v2 dst_sel:DWORD dst_unused:UNUSED_PAD src0_sel:WORD_1 src1_sel:DWORD
	v_fma_f16 v5, v39, v8, v5
	v_mul_f16_sdwa v8, v39, v8 dst_sel:DWORD dst_unused:UNUSED_PAD src0_sel:WORD_1 src1_sel:DWORD
	v_mad_u64_u32 v[0:1], s[6:7], s12, v153, v[0:1]
	v_fma_f16 v2, v39, v2, -v8
	v_add_u32_e32 v1, s2, v1
	v_pack_b32_f16 v2, v5, v2
	global_load_dword v8, v[0:1], off
	ds_write2_b32 v161, v9, v2 offset0:65 offset1:114
	s_waitcnt vmcnt(8)
	v_lshrrev_b32_e32 v2, 16, v12
	v_mul_f16_sdwa v5, v36, v2 dst_sel:DWORD dst_unused:UNUSED_PAD src0_sel:WORD_1 src1_sel:DWORD
	v_mul_f16_sdwa v9, v36, v12 dst_sel:DWORD dst_unused:UNUSED_PAD src0_sel:WORD_1 src1_sel:DWORD
	v_mad_u64_u32 v[0:1], s[6:7], s12, v153, v[0:1]
	v_fma_f16 v5, v36, v12, v5
	v_fma_f16 v2, v36, v2, -v9
	v_add_u32_e32 v1, s2, v1
	v_pack_b32_f16 v2, v5, v2
	global_load_dword v5, v[0:1], off
	v_mad_u64_u32 v[0:1], s[6:7], s12, v153, v[0:1]
	v_add_u32_e32 v1, s2, v1
	global_load_dword v9, v[0:1], off
	ds_write2_b32 v175, v6, v2 offset0:152 offset1:201
	s_waitcnt vmcnt(9)
	v_lshrrev_b32_e32 v2, 16, v3
	v_mul_f16_sdwa v6, v34, v2 dst_sel:DWORD dst_unused:UNUSED_PAD src0_sel:WORD_1 src1_sel:DWORD
	v_mad_u64_u32 v[0:1], s[6:7], s12, v153, v[0:1]
	v_fma_f16 v6, v34, v3, v6
	v_mul_f16_sdwa v3, v34, v3 dst_sel:DWORD dst_unused:UNUSED_PAD src0_sel:WORD_1 src1_sel:DWORD
	v_add_u32_e32 v1, s2, v1
	v_fma_f16 v2, v34, v2, -v3
	global_load_dword v3, v[0:1], off
	v_mad_u64_u32 v[0:1], s[6:7], s12, v153, v[0:1]
	v_add_u32_e32 v1, s2, v1
	v_pack_b32_f16 v2, v6, v2
	global_load_dword v6, v[0:1], off
	v_mad_u64_u32 v[0:1], s[6:7], s12, v153, v[0:1]
	v_add_u32_e32 v12, 0x1600, v22
	v_add_u32_e32 v1, s2, v1
	ds_write2_b32 v12, v4, v2 offset0:111 offset1:160
	global_load_dword v4, v[0:1], off
	v_mad_u64_u32 v[0:1], s[6:7], s12, v15, v[0:1]
	v_add_u32_e32 v1, s3, v1
	s_waitcnt vmcnt(11)
	v_lshrrev_b32_e32 v2, 16, v13
	global_load_dword v15, v[0:1], off
	v_mov_b32_e32 v162, v12
	v_mul_f16_sdwa v12, v33, v2 dst_sel:DWORD dst_unused:UNUSED_PAD src0_sel:WORD_1 src1_sel:DWORD
	v_fma_f16 v12, v33, v13, v12
	v_mul_f16_sdwa v13, v33, v13 dst_sel:DWORD dst_unused:UNUSED_PAD src0_sel:WORD_1 src1_sel:DWORD
	v_mad_u64_u32 v[0:1], s[6:7], s12, v153, v[0:1]
	v_fma_f16 v2, v33, v2, -v13
	v_add_u32_e32 v1, s2, v1
	v_pack_b32_f16 v2, v12, v2
	global_load_dword v12, v[0:1], off
	v_mad_u64_u32 v[0:1], s[6:7], s12, v153, v[0:1]
	v_add_u32_e32 v1, s2, v1
	global_load_dword v13, v[0:1], off
	ds_write2_b32 v191, v7, v2 offset0:70 offset1:119
	s_waitcnt vmcnt(10)
	v_lshrrev_b32_e32 v2, 16, v16
	v_mul_f16_sdwa v7, v38, v2 dst_sel:DWORD dst_unused:UNUSED_PAD src0_sel:WORD_1 src1_sel:DWORD
	v_mad_u64_u32 v[0:1], s[6:7], s12, v153, v[0:1]
	v_fma_f16 v7, v38, v16, v7
	v_mul_f16_sdwa v16, v38, v16 dst_sel:DWORD dst_unused:UNUSED_PAD src0_sel:WORD_1 src1_sel:DWORD
	v_add_u32_e32 v1, s2, v1
	v_fma_f16 v2, v38, v2, -v16
	global_load_dword v16, v[0:1], off
	v_mad_u64_u32 v[0:1], s[6:7], s12, v153, v[0:1]
	v_pack_b32_f16 v2, v7, v2
	v_add_u32_e32 v1, s2, v1
	ds_write2_b32 v209, v10, v2 offset0:157 offset1:206
	s_waitcnt vmcnt(10)
	v_lshrrev_b32_e32 v2, 16, v14
	global_load_dword v10, v[0:1], off
	v_mul_f16_sdwa v7, v31, v2 dst_sel:DWORD dst_unused:UNUSED_PAD src0_sel:WORD_1 src1_sel:DWORD
	v_fma_f16 v7, v31, v14, v7
	v_mul_f16_sdwa v14, v31, v14 dst_sel:DWORD dst_unused:UNUSED_PAD src0_sel:WORD_1 src1_sel:DWORD
	v_mad_u64_u32 v[0:1], s[6:7], s12, v153, v[0:1]
	v_fma_f16 v2, v31, v2, -v14
	v_add_u32_e32 v1, s2, v1
	v_pack_b32_f16 v2, v7, v2
	global_load_dword v7, v[0:1], off
	v_mad_u64_u32 v[0:1], s[6:7], s12, v153, v[0:1]
	v_add_u32_e32 v1, s2, v1
	global_load_dword v0, v[0:1], off
	ds_write2_b32 v22, v11, v2 offset0:196 offset1:245
	s_waitcnt vmcnt(12)
	v_lshrrev_b32_e32 v2, 16, v8
	v_mul_f16_sdwa v11, v29, v2 dst_sel:DWORD dst_unused:UNUSED_PAD src0_sel:WORD_1 src1_sel:DWORD
	v_fma_f16 v1, v29, v8, v11
	v_mul_f16_sdwa v8, v29, v8 dst_sel:DWORD dst_unused:UNUSED_PAD src0_sel:WORD_1 src1_sel:DWORD
	v_fma_f16 v2, v29, v2, -v8
	v_pack_b32_f16 v1, v1, v2
	s_waitcnt vmcnt(11)
	v_lshrrev_b32_e32 v2, 16, v5
	v_mul_f16_sdwa v8, v32, v2 dst_sel:DWORD dst_unused:UNUSED_PAD src0_sel:WORD_1 src1_sel:DWORD
	v_fma_f16 v8, v32, v5, v8
	v_mul_f16_sdwa v5, v32, v5 dst_sel:DWORD dst_unused:UNUSED_PAD src0_sel:WORD_1 src1_sel:DWORD
	v_fma_f16 v2, v32, v2, -v5
	s_waitcnt vmcnt(10)
	v_lshrrev_b32_e32 v5, 16, v9
	v_pack_b32_f16 v2, v8, v2
	v_mul_f16_sdwa v8, v28, v5 dst_sel:DWORD dst_unused:UNUSED_PAD src0_sel:WORD_1 src1_sel:DWORD
	v_fma_f16 v8, v28, v9, v8
	v_mul_f16_sdwa v9, v28, v9 dst_sel:DWORD dst_unused:UNUSED_PAD src0_sel:WORD_1 src1_sel:DWORD
	v_fma_f16 v5, v28, v5, -v9
	v_pack_b32_f16 v5, v8, v5
	s_waitcnt vmcnt(9)
	v_lshrrev_b32_e32 v8, 16, v3
	v_mul_f16_sdwa v9, v27, v8 dst_sel:DWORD dst_unused:UNUSED_PAD src0_sel:WORD_1 src1_sel:DWORD
	v_fma_f16 v9, v27, v3, v9
	v_mul_f16_sdwa v3, v27, v3 dst_sel:DWORD dst_unused:UNUSED_PAD src0_sel:WORD_1 src1_sel:DWORD
	v_fma_f16 v3, v27, v8, -v3
	s_waitcnt vmcnt(8)
	v_lshrrev_b32_e32 v8, 16, v6
	v_pack_b32_f16 v3, v9, v3
	v_mul_f16_sdwa v9, v26, v8 dst_sel:DWORD dst_unused:UNUSED_PAD src0_sel:WORD_1 src1_sel:DWORD
	v_fma_f16 v9, v26, v6, v9
	v_mul_f16_sdwa v6, v26, v6 dst_sel:DWORD dst_unused:UNUSED_PAD src0_sel:WORD_1 src1_sel:DWORD
	v_fma_f16 v6, v26, v8, -v6
	s_waitcnt vmcnt(7)
	v_lshrrev_b32_e32 v8, 16, v4
	v_pack_b32_f16 v6, v9, v6
	;; [unrolled: 7-line block ×3, first 2 shown]
	v_mul_f16_sdwa v9, v24, v8 dst_sel:DWORD dst_unused:UNUSED_PAD src0_sel:WORD_1 src1_sel:DWORD
	v_mul_f16_sdwa v11, v24, v15 dst_sel:DWORD dst_unused:UNUSED_PAD src0_sel:WORD_1 src1_sel:DWORD
	v_fma_f16 v9, v24, v15, v9
	v_fma_f16 v8, v24, v8, -v11
	v_pack_b32_f16 v8, v9, v8
	ds_write_b32 v22, v8 offset:1176
	v_accvgpr_write_b32 a10, v28
	s_waitcnt vmcnt(5)
	v_lshrrev_b32_e32 v8, 16, v12
	v_mul_f16_sdwa v9, v21, v8 dst_sel:DWORD dst_unused:UNUSED_PAD src0_sel:WORD_1 src1_sel:DWORD
	v_mul_f16_sdwa v11, v21, v12 dst_sel:DWORD dst_unused:UNUSED_PAD src0_sel:WORD_1 src1_sel:DWORD
	v_fma_f16 v9, v21, v12, v9
	v_fma_f16 v8, v21, v8, -v11
	v_pack_b32_f16 v8, v9, v8
	ds_write2_b32 v207, v1, v8 offset0:76 offset1:125
	s_waitcnt vmcnt(4)
	v_lshrrev_b32_e32 v1, 16, v13
	v_mul_f16_sdwa v8, v25, v1 dst_sel:DWORD dst_unused:UNUSED_PAD src0_sel:WORD_1 src1_sel:DWORD
	v_mul_f16_sdwa v9, v25, v13 dst_sel:DWORD dst_unused:UNUSED_PAD src0_sel:WORD_1 src1_sel:DWORD
	v_fma_f16 v8, v25, v13, v8
	v_fma_f16 v1, v25, v1, -v9
	v_pack_b32_f16 v1, v8, v1
	ds_write2_b32 v161, v2, v1 offset0:163 offset1:212
	s_waitcnt vmcnt(3)
	v_lshrrev_b32_e32 v1, 16, v16
	v_mul_f16_sdwa v2, v19, v1 dst_sel:DWORD dst_unused:UNUSED_PAD src0_sel:WORD_1 src1_sel:DWORD
	v_mul_f16_sdwa v8, v19, v16 dst_sel:DWORD dst_unused:UNUSED_PAD src0_sel:WORD_1 src1_sel:DWORD
	v_fma_f16 v2, v19, v16, v2
	v_fma_f16 v1, v19, v1, -v8
	v_pack_b32_f16 v1, v2, v1
	v_add_u32_e32 v2, 0x1200, v22
	ds_write2_b32 v2, v5, v1 offset0:122 offset1:171
	s_waitcnt vmcnt(2)
	v_lshrrev_b32_e32 v1, 16, v10
	v_mov_b32_e32 v152, v2
	v_mul_f16_sdwa v2, v18, v1 dst_sel:DWORD dst_unused:UNUSED_PAD src0_sel:WORD_1 src1_sel:DWORD
	v_mul_f16_sdwa v5, v18, v10 dst_sel:DWORD dst_unused:UNUSED_PAD src0_sel:WORD_1 src1_sel:DWORD
	v_fma_f16 v2, v18, v10, v2
	v_fma_f16 v1, v18, v1, -v5
	v_pack_b32_f16 v1, v2, v1
	ds_write2_b32 v165, v3, v1 offset0:81 offset1:130
	s_waitcnt vmcnt(1)
	v_lshrrev_b32_e32 v1, 16, v7
	v_mul_f16_sdwa v2, v17, v1 dst_sel:DWORD dst_unused:UNUSED_PAD src0_sel:WORD_1 src1_sel:DWORD
	v_mul_f16_sdwa v3, v17, v7 dst_sel:DWORD dst_unused:UNUSED_PAD src0_sel:WORD_1 src1_sel:DWORD
	v_fma_f16 v2, v17, v7, v2
	v_fma_f16 v1, v17, v1, -v3
	v_pack_b32_f16 v1, v2, v1
	ds_write2_b32 v191, v6, v1 offset0:168 offset1:217
	s_waitcnt vmcnt(0)
	v_lshrrev_b32_e32 v1, 16, v0
	v_mul_f16_sdwa v2, v20, v1 dst_sel:DWORD dst_unused:UNUSED_PAD src0_sel:WORD_1 src1_sel:DWORD
	v_fma_f16 v2, v20, v0, v2
	v_mul_f16_sdwa v0, v20, v0 dst_sel:DWORD dst_unused:UNUSED_PAD src0_sel:WORD_1 src1_sel:DWORD
	v_fma_f16 v0, v20, v1, -v0
	v_pack_b32_f16 v0, v2, v0
	v_add_u32_e32 v1, 0x2200, v22
	ds_write2_b32 v1, v4, v0 offset0:127 offset1:176
	v_mov_b32_e32 v157, v1
	s_waitcnt lgkmcnt(0)
	; wave barrier
	s_waitcnt lgkmcnt(0)
	ds_read2_b32 v[6:7], v207 offset0:174 offset1:223
	ds_read2_b32 v[0:1], v165 offset0:130 offset1:179
	;; [unrolled: 1-line block ×5, first 2 shown]
	v_accvgpr_write_b32 a7, v30
	s_waitcnt lgkmcnt(3)
	v_add_f16_e32 v31, v6, v1
	v_add_f16_sdwa v30, v6, v1 dst_sel:DWORD dst_unused:UNUSED_PAD src0_sel:WORD_1 src1_sel:WORD_1
	v_sub_f16_e32 v29, v6, v1
	v_sub_f16_sdwa v28, v6, v1 dst_sel:DWORD dst_unused:UNUSED_PAD src0_sel:WORD_1 src1_sel:WORD_1
	v_add_u32_e32 v1, 0xe00, v22
	v_accvgpr_write_b32 a20, v35
	v_accvgpr_write_b32 a16, v34
	;; [unrolled: 1-line block ×7, first 2 shown]
	s_waitcnt lgkmcnt(2)
	v_add_f16_e32 v12, v7, v14
	v_add_f16_sdwa v9, v7, v14 dst_sel:DWORD dst_unused:UNUSED_PAD src0_sel:WORD_1 src1_sel:WORD_1
	v_sub_f16_e32 v5, v7, v14
	v_sub_f16_sdwa v4, v7, v14 dst_sel:DWORD dst_unused:UNUSED_PAD src0_sel:WORD_1 src1_sel:WORD_1
	s_waitcnt lgkmcnt(1)
	v_add_f16_e32 v8, v2, v15
	v_add_f16_sdwa v11, v2, v15 dst_sel:DWORD dst_unused:UNUSED_PAD src0_sel:WORD_1 src1_sel:WORD_1
	v_sub_f16_e32 v7, v2, v15
	v_sub_f16_sdwa v6, v2, v15 dst_sel:DWORD dst_unused:UNUSED_PAD src0_sel:WORD_1 src1_sel:WORD_1
	ds_read2_b32 v[24:25], v161 offset0:114 offset1:163
	s_waitcnt lgkmcnt(1)
	v_add_f16_e32 v20, v3, v18
	v_add_f16_sdwa v16, v3, v18 dst_sel:DWORD dst_unused:UNUSED_PAD src0_sel:WORD_1 src1_sel:WORD_1
	v_sub_f16_e32 v13, v3, v18
	v_sub_f16_sdwa v10, v3, v18 dst_sel:DWORD dst_unused:UNUSED_PAD src0_sel:WORD_1 src1_sel:WORD_1
	ds_read2_b32 v[2:3], v191 offset0:168 offset1:217
	ds_read2_b32 v[32:33], v1 offset0:84 offset1:133
	;; [unrolled: 1-line block ×3, first 2 shown]
	v_accvgpr_write_b32 a9, v27
	v_accvgpr_write_b32 a8, v26
	;; [unrolled: 1-line block ×4, first 2 shown]
	s_waitcnt lgkmcnt(3)
	v_add_f16_e32 v18, v24, v19
	v_add_f16_sdwa v15, v24, v19 dst_sel:DWORD dst_unused:UNUSED_PAD src0_sel:WORD_1 src1_sel:WORD_1
	v_sub_f16_e32 v17, v24, v19
	v_sub_f16_sdwa v14, v24, v19 dst_sel:DWORD dst_unused:UNUSED_PAD src0_sel:WORD_1 src1_sel:WORD_1
	s_waitcnt lgkmcnt(2)
	v_add_f16_e32 v26, v25, v2
	v_add_f16_sdwa v23, v25, v2 dst_sel:DWORD dst_unused:UNUSED_PAD src0_sel:WORD_1 src1_sel:WORD_1
	v_sub_f16_e32 v21, v25, v2
	v_sub_f16_sdwa v19, v25, v2 dst_sel:DWORD dst_unused:UNUSED_PAD src0_sel:WORD_1 src1_sel:WORD_1
	;; [unrolled: 5-line block ×3, first 2 shown]
	ds_read2_b32 v[2:3], v175 offset0:54 offset1:103
	s_waitcnt lgkmcnt(1)
	v_add_f16_e32 v60, v33, v34
	v_add_f16_sdwa v61, v33, v34 dst_sel:DWORD dst_unused:UNUSED_PAD src0_sel:WORD_1 src1_sel:WORD_1
	v_sub_f16_e32 v62, v34, v33
	v_sub_f16_sdwa v63, v34, v33 dst_sel:DWORD dst_unused:UNUSED_PAD src0_sel:WORD_1 src1_sel:WORD_1
	ds_read2_b32 v[32:33], v163 offset0:190 offset1:239
	v_accvgpr_write_b32 a18, v39
	v_accvgpr_write_b32 a14, v38
	s_waitcnt lgkmcnt(1)
	v_add_f16_e32 v64, v2, v35
	v_add_f16_sdwa v65, v2, v35 dst_sel:DWORD dst_unused:UNUSED_PAD src0_sel:WORD_1 src1_sel:WORD_1
	v_sub_f16_e32 v66, v35, v2
	v_sub_f16_sdwa v67, v35, v2 dst_sel:DWORD dst_unused:UNUSED_PAD src0_sel:WORD_1 src1_sel:WORD_1
	ds_read2_b32 v[34:35], v175 offset0:152 offset1:201
	s_waitcnt lgkmcnt(1)
	v_add_f16_e32 v68, v3, v32
	v_add_f16_sdwa v69, v3, v32 dst_sel:DWORD dst_unused:UNUSED_PAD src0_sel:WORD_1 src1_sel:WORD_1
	v_sub_f16_e32 v70, v32, v3
	v_sub_f16_sdwa v71, v32, v3 dst_sel:DWORD dst_unused:UNUSED_PAD src0_sel:WORD_1 src1_sel:WORD_1
	ds_read2_b32 v[2:3], v165 offset0:32 offset1:81
	ds_read2_b32 v[38:39], v152 offset0:122 offset1:171
	v_accvgpr_write_b32 a26, v43
	v_accvgpr_write_b32 a24, v42
	;; [unrolled: 1-line block ×4, first 2 shown]
	v_mov_b32_e32 v166, v1
	s_waitcnt lgkmcnt(2)
	v_add_f16_e32 v72, v34, v33
	v_add_f16_sdwa v73, v34, v33 dst_sel:DWORD dst_unused:UNUSED_PAD src0_sel:WORD_1 src1_sel:WORD_1
	v_sub_f16_e32 v74, v33, v34
	v_sub_f16_sdwa v54, v33, v34 dst_sel:DWORD dst_unused:UNUSED_PAD src0_sel:WORD_1 src1_sel:WORD_1
	s_waitcnt lgkmcnt(1)
	v_add_f16_e32 v51, v35, v2
	v_add_f16_sdwa v50, v35, v2 dst_sel:DWORD dst_unused:UNUSED_PAD src0_sel:WORD_1 src1_sel:WORD_1
	v_sub_f16_e32 v49, v2, v35
	v_sub_f16_sdwa v48, v2, v35 dst_sel:DWORD dst_unused:UNUSED_PAD src0_sel:WORD_1 src1_sel:WORD_1
	;; [unrolled: 5-line block ×3, first 2 shown]
	ds_read_b32 v38, v212 offset:9408
	ds_read2_b32 v[2:3], v207 offset0:76 offset1:125
	v_add_f16_e32 v37, v39, v0
	v_add_f16_sdwa v36, v39, v0 dst_sel:DWORD dst_unused:UNUSED_PAD src0_sel:WORD_1 src1_sel:WORD_1
	v_sub_f16_e32 v35, v0, v39
	v_sub_f16_sdwa v34, v0, v39 dst_sel:DWORD dst_unused:UNUSED_PAD src0_sel:WORD_1 src1_sel:WORD_1
	ds_read2_b32 v[0:1], v209 offset0:206 offset1:255
	v_accvgpr_write_b32 a31, v47
	v_accvgpr_write_b32 a28, v45
	;; [unrolled: 1-line block ×5, first 2 shown]
	v_mov_b32_e32 v156, v46
	s_waitcnt lgkmcnt(1)
	v_add_f16_e32 v40, v3, v38
	v_add_f16_sdwa v41, v3, v38 dst_sel:DWORD dst_unused:UNUSED_PAD src0_sel:WORD_1 src1_sel:WORD_1
	v_sub_f16_e32 v39, v3, v38
	v_sub_f16_sdwa v38, v3, v38 dst_sel:DWORD dst_unused:UNUSED_PAD src0_sel:WORD_1 src1_sel:WORD_1
	ds_read2_b32 v[56:57], v173 offset0:106 offset1:155
	s_waitcnt lgkmcnt(1)
	v_add_f16_e32 v47, v2, v1
	v_add_f16_sdwa v46, v2, v1 dst_sel:DWORD dst_unused:UNUSED_PAD src0_sel:WORD_1 src1_sel:WORD_1
	v_sub_f16_e32 v45, v2, v1
	v_sub_f16_sdwa v44, v2, v1 dst_sel:DWORD dst_unused:UNUSED_PAD src0_sel:WORD_1 src1_sel:WORD_1
	ds_read2_b32 v[2:3], v209 offset0:108 offset1:157
	;; [unrolled: 6-line block ×4, first 2 shown]
	ds_read2_b32 v[0:1], v159 offset0:38 offset1:87
	s_waitcnt lgkmcnt(2)
	v_add_f16_e32 v80, v59, v2
	v_add_f16_sdwa v81, v59, v2 dst_sel:DWORD dst_unused:UNUSED_PAD src0_sel:WORD_1 src1_sel:WORD_1
	v_sub_f16_e32 v82, v59, v2
	v_sub_f16_sdwa v59, v59, v2 dst_sel:DWORD dst_unused:UNUSED_PAD src0_sel:WORD_1 src1_sel:WORD_1
	s_waitcnt lgkmcnt(0)
	v_add_f16_e32 v2, v1, v56
	v_add_f16_e32 v83, v58, v57
	v_add_f16_sdwa v84, v58, v57 dst_sel:DWORD dst_unused:UNUSED_PAD src0_sel:WORD_1 src1_sel:WORD_1
	v_sub_f16_e32 v85, v58, v57
	v_sub_f16_sdwa v57, v58, v57 dst_sel:DWORD dst_unused:UNUSED_PAD src0_sel:WORD_1 src1_sel:WORD_1
	v_add_f16_sdwa v3, v1, v56 dst_sel:DWORD dst_unused:UNUSED_PAD src0_sel:WORD_1 src1_sel:WORD_1
	v_sub_f16_e32 v58, v1, v56
	v_sub_f16_sdwa v1, v1, v56 dst_sel:DWORD dst_unused:UNUSED_PAD src0_sel:WORD_1 src1_sel:WORD_1
	v_add_f16_e32 v56, v31, v2
	v_sub_f16_e32 v86, v31, v2
	v_sub_f16_e32 v87, v60, v31
	v_add_f16_e32 v31, v60, v56
	v_add_f16_e32 v56, v30, v3
	v_sub_f16_e32 v2, v2, v60
	v_sub_f16_e32 v60, v30, v3
	;; [unrolled: 1-line block ×3, first 2 shown]
	v_add_f16_e32 v30, v61, v56
	v_add_f16_e32 v56, v62, v29
	v_sub_f16_e32 v3, v3, v61
	v_sub_f16_e32 v61, v62, v29
	;; [unrolled: 1-line block ×4, first 2 shown]
	v_add_f16_e32 v56, v56, v58
	v_add_f16_e32 v58, v63, v28
	v_sub_f16_e32 v92, v63, v28
	v_sub_f16_e32 v93, v28, v1
	ds_read2_b32 v[28:29], v212 offset1:49
	v_sub_f16_e32 v63, v1, v63
	v_add_f16_e32 v1, v58, v1
	s_mov_b32 s6, 0xbcab
	v_mul_f16_e32 v2, 0x3a52, v2
	s_waitcnt lgkmcnt(0)
	v_add_f16_e32 v58, v31, v28
	v_add_f16_sdwa v28, v30, v28 dst_sel:DWORD dst_unused:UNUSED_PAD src0_sel:DWORD src1_sel:WORD_1
	v_mul_f16_e32 v3, 0x3a52, v3
	v_fma_f16 v94, v31, s6, v58
	v_fma_f16 v95, v30, s6, v28
	s_mov_b32 s3, 0xb9e0
	s_mov_b32 s2, 0xb574
	v_mul_f16_e32 v30, 0xbb00, v91
	v_mul_f16_e32 v31, 0xbb00, v93
	v_fma_f16 v30, v62, s2, v30
	v_fma_f16 v31, v63, s2, v31
	v_fma_f16 v96, v86, s3, -v2
	v_fma_f16 v97, v60, s3, -v3
	s_movk_i32 s12, 0x370e
	s_movk_i32 s8, 0x2b26
	v_add_f16_e32 v96, v96, v94
	v_add_f16_e32 v97, v97, v95
	v_fma_f16 v98, v56, s12, v30
	v_fma_f16 v99, v1, s12, v31
	;; [unrolled: 1-line block ×3, first 2 shown]
	v_mul_f16_e32 v87, 0x2b26, v87
	s_movk_i32 s9, 0x39e0
	v_add_f16_e32 v30, v99, v96
	v_sub_f16_e32 v31, v97, v98
	v_mul_f16_e32 v61, 0xb846, v61
	v_mul_f16_e32 v92, 0xb846, v92
	s_movk_i32 s7, 0x3574
	v_fma_f16 v86, v86, s9, -v87
	v_mul_f16_e32 v87, 0x2b26, v90
	v_pack_b32_f16 v102, v30, v31
	v_fma_f16 v30, v62, s7, v61
	v_fma_f16 v31, v63, s7, v92
	v_fma_f16 v60, v60, s9, -v87
	v_fma_f16 v61, v91, s13, -v61
	;; [unrolled: 1-line block ×3, first 2 shown]
	v_fma_f16 v3, v90, s8, v3
	v_fma_f16 v103, v56, s12, v30
	;; [unrolled: 1-line block ×3, first 2 shown]
	v_add_f16_e32 v86, v86, v94
	v_add_f16_e32 v60, v60, v95
	v_fma_f16 v56, v56, s12, v61
	v_fma_f16 v1, v1, s12, v87
	v_add_f16_e32 v62, v2, v94
	v_add_f16_e32 v63, v3, v95
	v_sub_f16_e32 v61, v86, v1
	v_add_f16_e32 v1, v1, v86
	v_add_f16_e32 v86, v56, v60
	v_sub_f16_e32 v56, v60, v56
	v_add_f16_e32 v2, v62, v104
	v_sub_f16_e32 v3, v63, v103
	v_pack_b32_f16 v1, v1, v56
	v_pack_b32_f16 v56, v61, v86
	;; [unrolled: 1-line block ×3, first 2 shown]
	ds_read2_b32 v[30:31], v212 offset0:98 offset1:147
	ds_read2_b32 v[2:3], v212 offset0:196 offset1:245
	s_waitcnt lgkmcnt(0)
	; wave barrier
	s_waitcnt lgkmcnt(0)
	ds_write2_b32 v221, v56, v1 offset0:3 offset1:4
	v_sub_f16_e32 v1, v96, v99
	v_add_f16_e32 v56, v98, v97
	v_sub_f16_e32 v60, v62, v104
	v_add_f16_e32 v61, v103, v63
	v_pack_b32_f16 v60, v60, v61
	v_pack_b32_f16 v1, v1, v56
	ds_write2_b32 v221, v1, v60 offset0:5 offset1:6
	v_lshlrev_b32_e32 v1, 16, v28
	v_add_f16_e32 v28, v12, v83
	v_add_f16_e32 v60, v9, v84
	;; [unrolled: 1-line block ×5, first 2 shown]
	v_or_b32_e32 v1, v1, v58
	v_sub_f16_e32 v56, v12, v83
	v_sub_f16_e32 v58, v83, v64
	;; [unrolled: 1-line block ×9, first 2 shown]
	v_add_f16_e32 v63, v63, v85
	v_add_f16_e32 v5, v67, v4
	v_sub_f16_e32 v84, v4, v57
	v_add_f16_e32 v85, v28, v29
	v_add_f16_sdwa v29, v60, v29 dst_sel:DWORD dst_unused:UNUSED_PAD src0_sel:DWORD src1_sel:WORD_1
	v_sub_f16_e32 v83, v67, v4
	v_sub_f16_e32 v67, v57, v67
	v_add_f16_e32 v57, v5, v57
	ds_write_b32 v221, v1
	v_mul_f16_e32 v1, 0x3a52, v58
	v_mul_f16_e32 v4, 0x3a52, v62
	v_fma_f16 v58, v60, s6, v29
	v_mul_f16_e32 v5, 0xbb00, v66
	v_mul_f16_e32 v60, 0xbb00, v84
	v_fma_f16 v28, v28, s6, v85
	v_fma_f16 v5, v65, s2, v5
	;; [unrolled: 1-line block ×3, first 2 shown]
	v_fma_f16 v62, v56, s3, -v1
	v_fma_f16 v86, v61, s3, -v4
	v_add_f16_e32 v62, v62, v28
	v_add_f16_e32 v86, v86, v58
	v_fma_f16 v87, v63, s12, v5
	v_fma_f16 v60, v57, s12, v60
	v_add_f16_e32 v5, v60, v62
	v_sub_f16_e32 v90, v86, v87
	v_mul_f16_e32 v64, 0xb846, v64
	v_mul_f16_e32 v83, 0xb846, v83
	v_pack_b32_f16 v90, v5, v90
	v_fma_f16 v1, v12, s8, v1
	v_fma_f16 v4, v9, s8, v4
	;; [unrolled: 1-line block ×4, first 2 shown]
	v_add_f16_e32 v1, v1, v28
	v_add_f16_e32 v67, v4, v58
	v_fma_f16 v91, v63, s12, v5
	v_fma_f16 v65, v57, s12, v65
	v_add_f16_e32 v4, v1, v65
	v_sub_f16_e32 v5, v67, v91
	v_pack_b32_f16 v92, v4, v5
	v_lshl_add_u64 v[4:5], v[108:109], 0, 49
	v_mul_u32_u24_e32 v5, 7, v4
	v_lshlrev_b32_e32 v93, 2, v5
	v_mul_f16_e32 v5, 0x2b26, v12
	v_mul_f16_e32 v9, 0x2b26, v9
	v_fma_f16 v5, v56, s9, -v5
	v_fma_f16 v9, v61, s9, -v9
	;; [unrolled: 1-line block ×4, first 2 shown]
	v_add_f16_e32 v5, v5, v28
	v_add_f16_e32 v9, v9, v58
	v_fma_f16 v12, v63, s12, v12
	v_fma_f16 v28, v57, s12, v56
	v_sub_f16_e32 v56, v5, v28
	v_add_f16_e32 v5, v28, v5
	v_add_f16_e32 v28, v12, v9
	v_sub_f16_e32 v9, v9, v12
	v_pack_b32_f16 v5, v5, v9
	v_pack_b32_f16 v9, v56, v28
	ds_write2_b32 v221, v105, v102 offset0:1 offset1:2
	ds_write2_b32 v93, v9, v5 offset0:3 offset1:4
	v_sub_f16_e32 v5, v62, v60
	v_add_f16_e32 v9, v87, v86
	v_sub_f16_e32 v1, v1, v65
	v_add_f16_e32 v12, v91, v67
	v_pack_b32_f16 v1, v1, v12
	v_pack_b32_f16 v5, v5, v9
	ds_write2_b32 v93, v5, v1 offset0:5 offset1:6
	v_lshlrev_b32_e32 v1, 16, v29
	v_add_f16_e32 v5, v8, v80
	v_add_f16_e32 v28, v11, v81
	v_or_b32_e32 v1, v1, v85
	v_sub_f16_e32 v12, v80, v68
	v_add_f16_e32 v5, v68, v5
	v_sub_f16_e32 v56, v81, v69
	v_add_f16_e32 v28, v69, v28
	v_add_f16_e32 v57, v70, v7
	v_sub_f16_e32 v58, v70, v7
	v_sub_f16_e32 v61, v7, v82
	v_add_f16_e32 v7, v71, v6
	v_sub_f16_e32 v64, v6, v59
	v_sub_f16_e32 v9, v8, v80
	v_sub_f16_e32 v29, v11, v81
	v_sub_f16_e32 v60, v82, v70
	v_sub_f16_e32 v62, v71, v6
	v_sub_f16_e32 v63, v59, v71
	v_add_f16_e32 v59, v7, v59
	ds_write_b32 v93, v1
	v_mul_f16_e32 v1, 0x3a52, v12
	v_mul_f16_e32 v6, 0x3a52, v56
	v_add_f16_e32 v12, v5, v30
	v_add_f16_sdwa v30, v28, v30 dst_sel:DWORD dst_unused:UNUSED_PAD src0_sel:DWORD src1_sel:WORD_1
	v_mul_f16_e32 v7, 0xbb00, v61
	v_mul_f16_e32 v56, 0xbb00, v64
	v_add_f16_e32 v57, v57, v82
	v_fma_f16 v5, v5, s6, v12
	v_fma_f16 v28, v28, s6, v30
	;; [unrolled: 1-line block ×4, first 2 shown]
	v_fma_f16 v65, v9, s3, -v1
	v_fma_f16 v66, v29, s3, -v6
	v_add_f16_e32 v65, v65, v5
	v_add_f16_e32 v66, v66, v28
	v_fma_f16 v67, v57, s12, v7
	v_fma_f16 v56, v59, s12, v56
	v_sub_f16_e32 v8, v68, v8
	v_sub_f16_e32 v11, v69, v11
	v_add_f16_e32 v7, v56, v65
	v_sub_f16_e32 v68, v66, v67
	v_mul_f16_e32 v58, 0xb846, v58
	v_mul_f16_e32 v62, 0xb846, v62
	v_pack_b32_f16 v68, v7, v68
	v_fma_f16 v1, v8, s8, v1
	v_fma_f16 v6, v11, s8, v6
	;; [unrolled: 1-line block ×4, first 2 shown]
	v_add_f16_e32 v1, v1, v5
	v_add_f16_e32 v63, v6, v28
	v_fma_f16 v69, v57, s12, v7
	v_fma_f16 v60, v59, s12, v60
	v_add_f16_e32 v6, v1, v60
	v_sub_f16_e32 v7, v63, v69
	v_pack_b32_f16 v70, v6, v7
	v_lshl_add_u64 v[6:7], v[108:109], 0, s[14:15]
	v_mul_u32_u24_e32 v7, 7, v6
	v_lshlrev_b32_e32 v255, 2, v7
	v_mul_f16_e32 v7, 0x2b26, v8
	v_mul_f16_e32 v8, 0x2b26, v11
	v_fma_f16 v7, v9, s9, -v7
	v_fma_f16 v8, v29, s9, -v8
	;; [unrolled: 1-line block ×4, first 2 shown]
	v_add_f16_e32 v5, v7, v5
	v_add_f16_e32 v7, v8, v28
	v_fma_f16 v8, v57, s12, v9
	v_fma_f16 v9, v59, s12, v11
	v_sub_f16_e32 v11, v5, v9
	v_add_f16_e32 v5, v9, v5
	v_add_f16_e32 v9, v8, v7
	v_sub_f16_e32 v7, v7, v8
	v_pack_b32_f16 v5, v5, v7
	v_pack_b32_f16 v7, v11, v9
	ds_write2_b32 v93, v92, v90 offset0:1 offset1:2
	ds_write2_b32 v255, v7, v5 offset0:3 offset1:4
	v_sub_f16_e32 v5, v65, v56
	v_add_f16_e32 v7, v67, v66
	v_sub_f16_e32 v1, v1, v60
	v_add_f16_e32 v8, v69, v63
	v_pack_b32_f16 v1, v1, v8
	v_pack_b32_f16 v5, v5, v7
	ds_write2_b32 v255, v5, v1 offset0:5 offset1:6
	v_add_f16_e32 v5, v20, v76
	v_add_f16_e32 v9, v16, v77
	v_lshlrev_b32_e32 v1, 16, v30
	v_add_f16_e32 v5, v72, v5
	v_add_f16_e32 v9, v73, v9
	v_or_b32_e32 v1, v1, v12
	v_sub_f16_e32 v7, v20, v76
	v_sub_f16_e32 v8, v76, v72
	;; [unrolled: 1-line block ×4, first 2 shown]
	v_add_f16_e32 v28, v74, v13
	v_sub_f16_e32 v29, v74, v13
	v_sub_f16_e32 v13, v13, v78
	v_add_f16_e32 v56, v54, v10
	v_sub_f16_e32 v57, v54, v10
	v_sub_f16_e32 v10, v10, v79
	v_add_f16_e32 v58, v5, v31
	v_add_f16_sdwa v31, v9, v31 dst_sel:DWORD dst_unused:UNUSED_PAD src0_sel:DWORD src1_sel:WORD_1
	v_sub_f16_e32 v12, v16, v77
	v_sub_f16_e32 v30, v78, v74
	;; [unrolled: 1-line block ×3, first 2 shown]
	ds_write_b32 v255, v1
	v_mul_f16_e32 v1, 0x3a52, v8
	v_mul_f16_e32 v8, 0x3a52, v20
	v_fma_f16 v20, v9, s6, v31
	v_mul_f16_e32 v9, 0xbb00, v13
	v_mul_f16_e32 v59, 0xbb00, v10
	v_add_f16_e32 v28, v28, v78
	v_add_f16_e32 v56, v56, v79
	v_fma_f16 v5, v5, s6, v58
	v_fma_f16 v9, v30, s2, v9
	;; [unrolled: 1-line block ×3, first 2 shown]
	v_fma_f16 v60, v7, s3, -v1
	v_fma_f16 v61, v12, s3, -v8
	v_add_f16_e32 v60, v60, v5
	v_add_f16_e32 v61, v61, v20
	v_fma_f16 v62, v28, s12, v9
	v_fma_f16 v59, v56, s12, v59
	v_sub_f16_e32 v16, v73, v16
	v_add_f16_e32 v9, v59, v60
	v_sub_f16_e32 v63, v61, v62
	v_mul_f16_e32 v29, 0xb846, v29
	v_mul_f16_e32 v57, 0xb846, v57
	v_pack_b32_f16 v63, v9, v63
	v_fma_f16 v1, v11, s8, v1
	v_fma_f16 v8, v16, s8, v8
	;; [unrolled: 1-line block ×4, first 2 shown]
	v_add_f16_e32 v1, v1, v5
	v_add_f16_e32 v54, v8, v20
	v_fma_f16 v64, v28, s12, v9
	v_fma_f16 v30, v56, s12, v30
	v_add_f16_e32 v8, v1, v30
	v_sub_f16_e32 v9, v54, v64
	s_mov_b64 s[14:15], 0x93
	v_pack_b32_f16 v65, v8, v9
	v_lshl_add_u64 v[8:9], v[108:109], 0, s[14:15]
	v_mul_u32_u24_e32 v9, 7, v8
	v_lshlrev_b32_e32 v211, 2, v9
	v_mul_f16_e32 v9, 0x2b26, v11
	v_fma_f16 v7, v7, s9, -v9
	v_mul_f16_e32 v9, 0x2b26, v16
	v_fma_f16 v9, v12, s9, -v9
	v_fma_f16 v11, v13, s13, -v29
	v_fma_f16 v10, v10, s13, -v57
	v_add_f16_e32 v5, v7, v5
	v_add_f16_e32 v7, v9, v20
	v_fma_f16 v9, v28, s12, v11
	v_fma_f16 v10, v56, s12, v10
	v_sub_f16_e32 v11, v5, v10
	v_add_f16_e32 v5, v10, v5
	v_add_f16_e32 v10, v9, v7
	v_sub_f16_e32 v7, v7, v9
	v_pack_b32_f16 v5, v5, v7
	v_pack_b32_f16 v7, v11, v10
	ds_write2_b32 v255, v70, v68 offset0:1 offset1:2
	ds_write2_b32 v211, v7, v5 offset0:3 offset1:4
	v_sub_f16_e32 v5, v60, v59
	v_add_f16_e32 v7, v62, v61
	v_sub_f16_e32 v1, v1, v30
	v_add_f16_e32 v9, v64, v54
	v_pack_b32_f16 v1, v1, v9
	v_pack_b32_f16 v5, v5, v7
	ds_write2_b32 v211, v5, v1 offset0:5 offset1:6
	v_add_f16_e32 v5, v18, v55
	v_add_f16_e32 v10, v15, v75
	v_lshlrev_b32_e32 v1, 16, v31
	v_add_f16_e32 v5, v51, v5
	v_add_f16_e32 v10, v50, v10
	v_or_b32_e32 v1, v1, v58
	v_sub_f16_e32 v7, v18, v55
	v_sub_f16_e32 v9, v55, v51
	;; [unrolled: 1-line block ×4, first 2 shown]
	v_add_f16_e32 v16, v49, v17
	v_sub_f16_e32 v18, v49, v17
	v_sub_f16_e32 v17, v17, v53
	v_add_f16_e32 v28, v48, v14
	v_sub_f16_e32 v29, v48, v14
	v_sub_f16_e32 v14, v14, v52
	v_add_f16_e32 v31, v5, v2
	v_add_f16_sdwa v2, v10, v2 dst_sel:DWORD dst_unused:UNUSED_PAD src0_sel:DWORD src1_sel:WORD_1
	v_sub_f16_e32 v13, v15, v75
	v_sub_f16_e32 v20, v53, v49
	;; [unrolled: 1-line block ×3, first 2 shown]
	ds_write_b32 v211, v1
	v_mul_f16_e32 v1, 0x3a52, v9
	v_mul_f16_e32 v9, 0x3a52, v11
	v_fma_f16 v48, v10, s6, v2
	v_mul_f16_e32 v10, 0xbb00, v17
	v_mul_f16_e32 v11, 0xbb00, v14
	v_sub_f16_e32 v15, v50, v15
	v_add_f16_e32 v16, v16, v53
	v_add_f16_e32 v28, v28, v52
	v_fma_f16 v5, v5, s6, v31
	v_fma_f16 v10, v20, s2, v10
	;; [unrolled: 1-line block ×3, first 2 shown]
	v_fma_f16 v49, v7, s3, -v1
	v_fma_f16 v50, v13, s3, -v9
	v_add_f16_e32 v49, v49, v5
	v_add_f16_e32 v50, v50, v48
	v_fma_f16 v51, v16, s12, v10
	v_fma_f16 v52, v28, s12, v11
	v_add_f16_e32 v10, v52, v49
	v_sub_f16_e32 v11, v50, v51
	v_mul_f16_e32 v18, 0xb846, v18
	v_mul_f16_e32 v29, 0xb846, v29
	v_pack_b32_f16 v53, v10, v11
	v_fma_f16 v1, v12, s8, v1
	v_fma_f16 v9, v15, s8, v9
	;; [unrolled: 1-line block ×4, first 2 shown]
	v_add_f16_e32 v1, v1, v5
	v_add_f16_e32 v9, v9, v48
	v_fma_f16 v20, v16, s12, v10
	v_fma_f16 v30, v28, s12, v11
	v_add_f16_e32 v10, v1, v30
	v_sub_f16_e32 v11, v9, v20
	s_mov_b64 s[14:15], 0xc4
	v_pack_b32_f16 v54, v10, v11
	v_lshl_add_u64 v[10:11], v[108:109], 0, s[14:15]
	v_mul_u32_u24_e32 v11, 7, v10
	v_lshlrev_b32_e32 v193, 2, v11
	v_mul_f16_e32 v11, 0x2b26, v12
	v_fma_f16 v7, v7, s9, -v11
	v_mul_f16_e32 v11, 0x2b26, v15
	v_fma_f16 v11, v13, s9, -v11
	v_fma_f16 v12, v17, s13, -v18
	v_fma_f16 v13, v14, s13, -v29
	v_add_f16_e32 v5, v7, v5
	v_add_f16_e32 v7, v11, v48
	v_fma_f16 v11, v16, s12, v12
	v_fma_f16 v12, v28, s12, v13
	v_sub_f16_e32 v13, v5, v12
	v_add_f16_e32 v5, v12, v5
	v_add_f16_e32 v12, v11, v7
	v_sub_f16_e32 v7, v7, v11
	v_pack_b32_f16 v5, v5, v7
	v_pack_b32_f16 v7, v13, v12
	ds_write2_b32 v211, v65, v63 offset0:1 offset1:2
	ds_write2_b32 v193, v7, v5 offset0:3 offset1:4
	v_sub_f16_e32 v5, v49, v52
	v_add_f16_e32 v7, v51, v50
	v_sub_f16_e32 v1, v1, v30
	v_add_f16_e32 v9, v20, v9
	v_pack_b32_f16 v1, v1, v9
	v_pack_b32_f16 v5, v5, v7
	ds_write2_b32 v193, v5, v1 offset0:5 offset1:6
	v_lshlrev_b32_e32 v1, 16, v2
	v_add_f16_e32 v2, v26, v47
	v_add_f16_e32 v11, v23, v46
	v_or_b32_e32 v1, v1, v31
	v_sub_f16_e32 v7, v47, v43
	v_add_f16_e32 v2, v43, v2
	v_sub_f16_e32 v13, v46, v42
	v_add_f16_e32 v11, v42, v11
	v_add_f16_e32 v15, v33, v21
	v_sub_f16_e32 v16, v33, v21
	v_sub_f16_e32 v18, v21, v45
	v_add_f16_e32 v20, v32, v19
	v_sub_f16_e32 v21, v32, v19
	v_sub_f16_e32 v19, v19, v44
	;; [unrolled: 1-line block ×8, first 2 shown]
	v_add_f16_e32 v26, v2, v3
	v_add_f16_sdwa v3, v11, v3 dst_sel:DWORD dst_unused:UNUSED_PAD src0_sel:DWORD src1_sel:WORD_1
	ds_write_b32 v193, v1
	v_mul_f16_e32 v1, 0x3a52, v7
	v_mul_f16_e32 v7, 0x3a52, v13
	v_mul_f16_e32 v13, 0xbb00, v18
	v_mul_f16_e32 v28, 0xbb00, v19
	v_add_f16_e32 v15, v15, v45
	v_add_f16_e32 v20, v20, v44
	v_fma_f16 v2, v2, s6, v26
	v_fma_f16 v11, v11, s6, v3
	;; [unrolled: 1-line block ×4, first 2 shown]
	v_fma_f16 v29, v5, s3, -v1
	v_fma_f16 v30, v12, s3, -v7
	v_mul_f16_e32 v16, 0xb846, v16
	v_mul_f16_e32 v21, 0xb846, v21
	v_add_f16_e32 v29, v29, v2
	v_add_f16_e32 v30, v30, v11
	v_fma_f16 v13, v15, s12, v13
	v_fma_f16 v28, v20, s12, v28
	;; [unrolled: 1-line block ×6, first 2 shown]
	v_mul_f16_e32 v9, 0x2b26, v9
	v_add_f16_e32 v31, v28, v29
	v_sub_f16_e32 v32, v30, v13
	v_add_f16_e32 v1, v1, v2
	v_add_f16_e32 v7, v7, v11
	v_fma_f16 v17, v15, s12, v17
	v_fma_f16 v23, v20, s12, v23
	v_fma_f16 v5, v5, s9, -v9
	v_mul_f16_e32 v9, 0x2b26, v14
	v_pack_b32_f16 v31, v31, v32
	v_add_f16_e32 v32, v1, v23
	v_sub_f16_e32 v33, v7, v17
	s_mov_b64 s[14:15], 0xf5
	v_fma_f16 v9, v12, s9, -v9
	v_fma_f16 v12, v18, s13, -v16
	;; [unrolled: 1-line block ×3, first 2 shown]
	v_pack_b32_f16 v42, v32, v33
	v_lshl_add_u64 v[32:33], v[108:109], 0, s[14:15]
	v_add_f16_e32 v2, v5, v2
	v_add_f16_e32 v5, v9, v11
	v_fma_f16 v9, v15, s12, v12
	v_fma_f16 v11, v20, s12, v14
	v_mul_u32_u24_e32 v33, 7, v32
	v_sub_f16_e32 v12, v2, v11
	v_add_f16_e32 v2, v11, v2
	v_add_f16_e32 v11, v9, v5
	v_sub_f16_e32 v5, v5, v9
	v_lshlrev_b32_e32 v155, 2, v33
	v_pack_b32_f16 v2, v2, v5
	v_pack_b32_f16 v5, v12, v11
	ds_write2_b32 v193, v54, v53 offset0:1 offset1:2
	ds_write2_b32 v155, v5, v2 offset0:3 offset1:4
	v_sub_f16_e32 v2, v29, v28
	v_add_f16_e32 v5, v13, v30
	v_sub_f16_e32 v1, v1, v23
	v_add_f16_e32 v7, v17, v7
	v_pack_b32_f16 v1, v1, v7
	v_pack_b32_f16 v2, v2, v5
	ds_write2_b32 v155, v2, v1 offset0:5 offset1:6
	v_lshlrev_b32_e32 v1, 16, v3
	v_add_f16_e32 v2, v25, v40
	v_add_f16_e32 v9, v27, v41
	v_or_b32_e32 v1, v1, v26
	v_sub_f16_e32 v5, v40, v37
	v_add_f16_e32 v2, v37, v2
	v_sub_f16_e32 v12, v41, v36
	v_add_f16_e32 v9, v36, v9
	v_sub_f16_e32 v17, v24, v39
	v_sub_f16_e32 v21, v22, v38
	v_sub_f16_e32 v3, v25, v40
	v_sub_f16_e32 v7, v37, v25
	v_sub_f16_e32 v11, v27, v41
	v_add_f16_e32 v14, v35, v24
	v_sub_f16_e32 v15, v35, v24
	v_sub_f16_e32 v16, v39, v35
	v_add_f16_e32 v18, v34, v22
	v_sub_f16_e32 v19, v34, v22
	v_sub_f16_e32 v20, v38, v34
	v_add_f16_e32 v22, v2, v0
	v_add_f16_sdwa v0, v9, v0 dst_sel:DWORD dst_unused:UNUSED_PAD src0_sel:DWORD src1_sel:WORD_1
	ds_write_b32 v155, v1
	v_mul_f16_e32 v1, 0x3a52, v5
	v_mul_f16_e32 v5, 0x3a52, v12
	v_mul_f16_e32 v12, 0xbb00, v17
	v_mul_f16_e32 v23, 0xbb00, v21
	v_sub_f16_e32 v13, v36, v27
	v_add_f16_e32 v14, v14, v39
	v_add_f16_e32 v18, v18, v38
	v_fma_f16 v2, v2, s6, v22
	v_fma_f16 v9, v9, s6, v0
	v_fma_f16 v12, v16, s2, v12
	v_fma_f16 v23, v20, s2, v23
	v_fma_f16 v24, v3, s3, -v1
	v_fma_f16 v25, v11, s3, -v5
	v_mul_f16_e32 v15, 0xb846, v15
	v_mul_f16_e32 v19, 0xb846, v19
	v_fma_f16 v1, v7, s8, v1
	v_mul_f16_e32 v7, 0x2b26, v7
	v_add_f16_e32 v24, v24, v2
	v_add_f16_e32 v25, v25, v9
	v_fma_f16 v12, v14, s12, v12
	v_fma_f16 v23, v18, s12, v23
	;; [unrolled: 1-line block ×5, first 2 shown]
	v_fma_f16 v3, v3, s9, -v7
	v_mul_f16_e32 v7, 0x2b26, v13
	v_add_f16_e32 v26, v23, v24
	v_sub_f16_e32 v27, v25, v12
	v_add_f16_e32 v1, v1, v2
	v_add_f16_e32 v5, v5, v9
	v_fma_f16 v16, v14, s12, v16
	v_fma_f16 v20, v18, s12, v20
	s_mov_b64 s[14:15], 0x126
	v_fma_f16 v7, v11, s9, -v7
	v_fma_f16 v11, v17, s13, -v15
	;; [unrolled: 1-line block ×3, first 2 shown]
	v_pack_b32_f16 v26, v26, v27
	v_add_f16_e32 v27, v1, v20
	v_sub_f16_e32 v28, v5, v16
	v_lshl_add_u64 v[34:35], v[108:109], 0, s[14:15]
	v_add_f16_e32 v2, v3, v2
	v_add_f16_e32 v3, v7, v9
	v_fma_f16 v7, v14, s12, v11
	v_fma_f16 v9, v18, s12, v13
	v_pack_b32_f16 v27, v27, v28
	v_mul_u32_u24_e32 v28, 7, v34
	v_sub_f16_e32 v11, v2, v9
	v_add_f16_e32 v2, v9, v2
	v_add_f16_e32 v9, v7, v3
	v_sub_f16_e32 v3, v3, v7
	v_lshlrev_b32_e32 v218, 2, v28
	v_pack_b32_f16 v2, v2, v3
	v_pack_b32_f16 v3, v11, v9
	v_sub_f16_e32 v1, v1, v20
	v_add_f16_e32 v5, v16, v5
	v_lshlrev_b32_e32 v0, 16, v0
	ds_write2_b32 v155, v42, v31 offset0:1 offset1:2
	ds_write2_b32 v218, v3, v2 offset0:3 offset1:4
	v_sub_f16_e32 v2, v24, v23
	v_add_f16_e32 v3, v12, v25
	v_pack_b32_f16 v1, v1, v5
	v_or_b32_e32 v0, v0, v22
	v_mov_b32_e32 v5, 37
	v_pack_b32_f16 v2, v2, v3
	ds_write_b32 v218, v0
	v_mul_lo_u16_sdwa v0, v108, v5 dst_sel:DWORD dst_unused:UNUSED_PAD src0_sel:BYTE_0 src1_sel:DWORD
	ds_write2_b32 v218, v2, v1 offset0:5 offset1:6
	v_sub_u16_sdwa v1, v108, v0 dst_sel:DWORD dst_unused:UNUSED_PAD src0_sel:DWORD src1_sel:BYTE_1
	v_lshrrev_b16_e32 v1, 1, v1
	v_and_b32_e32 v1, 0x7f, v1
	v_add_u16_sdwa v0, v1, v0 dst_sel:DWORD dst_unused:UNUSED_PAD src0_sel:DWORD src1_sel:BYTE_1
	v_lshrrev_b16_e32 v21, 2, v0
	v_mul_lo_u16_e32 v0, 7, v21
	v_sub_u16_e32 v0, v108, v0
	v_and_b32_e32 v22, 0xff, v0
	v_mul_u32_u24_e32 v0, 6, v22
	v_lshlrev_b32_e32 v7, 2, v0
	ds_write2_b32 v218, v27, v26 offset0:1 offset1:2
	s_waitcnt lgkmcnt(0)
	; wave barrier
	s_waitcnt lgkmcnt(0)
	global_load_dwordx4 v[102:105], v7, s[10:11]
	global_load_dwordx2 v[98:99], v7, s[10:11] offset:16
	v_mul_lo_u16_sdwa v7, v4, v5 dst_sel:DWORD dst_unused:UNUSED_PAD src0_sel:BYTE_0 src1_sel:DWORD
	v_sub_u16_sdwa v9, v4, v7 dst_sel:DWORD dst_unused:UNUSED_PAD src0_sel:DWORD src1_sel:BYTE_1
	v_lshrrev_b16_e32 v9, 1, v9
	v_and_b32_e32 v9, 0x7f, v9
	v_add_u16_sdwa v20, v9, v7 dst_sel:DWORD dst_unused:UNUSED_PAD src0_sel:DWORD src1_sel:BYTE_1
	v_mul_lo_u16_sdwa v7, v6, v5 dst_sel:DWORD dst_unused:UNUSED_PAD src0_sel:BYTE_0 src1_sel:DWORD
	v_sub_u16_sdwa v9, v6, v7 dst_sel:DWORD dst_unused:UNUSED_PAD src0_sel:DWORD src1_sel:BYTE_1
	v_lshrrev_b16_e32 v9, 1, v9
	v_and_b32_e32 v9, 0x7f, v9
	v_add_u16_sdwa v19, v9, v7 dst_sel:DWORD dst_unused:UNUSED_PAD src0_sel:DWORD src1_sel:BYTE_1
	v_mul_lo_u16_sdwa v7, v8, v5 dst_sel:DWORD dst_unused:UNUSED_PAD src0_sel:BYTE_0 src1_sel:DWORD
	v_sub_u16_sdwa v9, v8, v7 dst_sel:DWORD dst_unused:UNUSED_PAD src0_sel:DWORD src1_sel:BYTE_1
	v_lshrrev_b16_e32 v9, 1, v9
	v_and_b32_e32 v9, 0x7f, v9
	v_mul_lo_u16_sdwa v5, v10, v5 dst_sel:DWORD dst_unused:UNUSED_PAD src0_sel:BYTE_0 src1_sel:DWORD
	v_add_u16_sdwa v18, v9, v7 dst_sel:DWORD dst_unused:UNUSED_PAD src0_sel:DWORD src1_sel:BYTE_1
	v_sub_u16_sdwa v7, v10, v5 dst_sel:DWORD dst_unused:UNUSED_PAD src0_sel:DWORD src1_sel:BYTE_1
	v_lshrrev_b16_e32 v7, 1, v7
	v_and_b32_e32 v7, 0x7f, v7
	s_movk_i32 s14, 0x2493
	v_add_u16_sdwa v17, v7, v5 dst_sel:DWORD dst_unused:UNUSED_PAD src0_sel:DWORD src1_sel:BYTE_1
	v_mul_u32_u24_sdwa v5, v32, s14 dst_sel:DWORD dst_unused:UNUSED_PAD src0_sel:WORD_0 src1_sel:DWORD
	v_sub_u16_sdwa v7, v32, v5 dst_sel:DWORD dst_unused:UNUSED_PAD src0_sel:DWORD src1_sel:WORD_1
	ds_read2_b32 v[12:13], v159 offset0:38 offset1:87
	v_lshrrev_b16_e32 v7, 1, v7
	v_add_u16_sdwa v16, v7, v5 dst_sel:DWORD dst_unused:UNUSED_PAD src0_sel:DWORD src1_sel:WORD_1
	v_mul_u32_u24_sdwa v5, v34, s14 dst_sel:DWORD dst_unused:UNUSED_PAD src0_sel:WORD_0 src1_sel:DWORD
	ds_read2_b32 v[46:47], v209 offset0:10 offset1:59
	v_sub_u16_sdwa v7, v34, v5 dst_sel:DWORD dst_unused:UNUSED_PAD src0_sel:DWORD src1_sel:WORD_1
	v_lshrrev_b16_e32 v7, 1, v7
	v_lshrrev_b16_e32 v126, 2, v20
	v_add_u16_sdwa v5, v7, v5 dst_sel:DWORD dst_unused:UNUSED_PAD src0_sel:DWORD src1_sel:WORD_1
	s_waitcnt lgkmcnt(1)
	v_lshrrev_b32_e32 v7, 16, v13
	v_mul_lo_u16_e32 v20, 7, v126
	v_sub_u16_e32 v20, v4, v20
	v_and_b32_e32 v127, 0xff, v20
	v_mul_u32_u24_e32 v20, 6, v127
	v_lshlrev_b32_e32 v20, 2, v20
	ds_read2_b32 v[48:49], v207 offset0:174 offset1:223
	ds_read2_b32 v[44:45], v166 offset0:84 offset1:133
	;; [unrolled: 1-line block ×3, first 2 shown]
	ds_read2_b32 v[52:53], v212 offset1:49
	v_mul_u32_u24_e32 v21, 49, v21
	s_waitcnt lgkmcnt(3)
	v_lshrrev_b32_e32 v23, 16, v48
	v_add_lshl_u32 v233, v21, v22, 2
	v_lshrrev_b16_e32 v128, 2, v19
	v_lshrrev_b16_e32 v130, 2, v18
	;; [unrolled: 1-line block ×3, first 2 shown]
	v_mul_lo_u16_e32 v19, 7, v128
	v_mul_lo_u16_e32 v18, 7, v130
	;; [unrolled: 1-line block ×3, first 2 shown]
	v_lshrrev_b16_e32 v95, 2, v16
	v_sub_u16_e32 v19, v6, v19
	v_sub_u16_e32 v18, v8, v18
	;; [unrolled: 1-line block ×3, first 2 shown]
	v_mul_lo_u16_e32 v16, 7, v95
	v_lshrrev_b16_e32 v5, 2, v5
	v_and_b32_e32 v129, 0xff, v19
	v_and_b32_e32 v131, 0xff, v18
	;; [unrolled: 1-line block ×3, first 2 shown]
	v_sub_u16_e32 v0, v32, v16
	v_mul_u32_u24_e32 v19, 6, v129
	v_mul_u32_u24_e32 v18, 6, v131
	;; [unrolled: 1-line block ×3, first 2 shown]
	v_mul_lo_u16_e32 v16, 6, v0
	v_lshlrev_b32_e32 v19, 2, v19
	v_lshlrev_b32_e32 v18, 2, v18
	;; [unrolled: 1-line block ×4, first 2 shown]
	v_accvgpr_write_b32 a59, v93
	v_mov_b32_e32 v2, v108
	v_accvgpr_write_b32 a38, v2
	v_mov_b32_e32 v97, v166
	v_accvgpr_write_b32 a57, v158
	v_accvgpr_write_b32 a58, v162
	;; [unrolled: 1-line block ×5, first 2 shown]
	s_waitcnt vmcnt(1)
	v_mul_f16_sdwa v9, v13, v102 dst_sel:DWORD dst_unused:UNUSED_PAD src0_sel:DWORD src1_sel:WORD_1
	v_fma_f16 v11, v7, v102, v9
	v_mul_f16_sdwa v7, v7, v102 dst_sel:DWORD dst_unused:UNUSED_PAD src0_sel:DWORD src1_sel:WORD_1
	v_fma_f16 v7, v13, v102, -v7
	v_lshrrev_b32_e32 v9, 16, v46
	s_waitcnt vmcnt(0)
	v_mul_f16_sdwa v13, v46, v99 dst_sel:DWORD dst_unused:UNUSED_PAD src0_sel:DWORD src1_sel:WORD_1
	v_fma_f16 v14, v9, v99, v13
	v_mul_f16_sdwa v9, v9, v99 dst_sel:DWORD dst_unused:UNUSED_PAD src0_sel:DWORD src1_sel:WORD_1
	v_fma_f16 v13, v46, v99, -v9
	v_add_f16_e32 v9, v7, v13
	v_sub_f16_e32 v7, v7, v13
	v_add_f16_e32 v13, v11, v14
	v_sub_f16_e32 v11, v11, v14
	ds_read2_b32 v[14:15], v165 offset0:130 offset1:179
	global_load_dwordx2 v[90:91], v20, s[10:11] offset:16
	global_load_dwordx4 v[36:39], v20, s[10:11]
	v_mul_f16_sdwa v24, v48, v103 dst_sel:DWORD dst_unused:UNUSED_PAD src0_sel:DWORD src1_sel:WORD_1
	v_fma_f16 v24, v23, v103, v24
	v_mul_f16_sdwa v23, v23, v103 dst_sel:DWORD dst_unused:UNUSED_PAD src0_sel:DWORD src1_sel:WORD_1
	s_waitcnt lgkmcnt(0)
	v_lshrrev_b32_e32 v25, 16, v15
	v_mul_f16_sdwa v26, v15, v98 dst_sel:DWORD dst_unused:UNUSED_PAD src0_sel:DWORD src1_sel:WORD_1
	v_fma_f16 v26, v25, v98, v26
	v_mul_f16_sdwa v25, v25, v98 dst_sel:DWORD dst_unused:UNUSED_PAD src0_sel:DWORD src1_sel:WORD_1
	v_fma_f16 v23, v48, v103, -v23
	v_fma_f16 v15, v15, v98, -v25
	v_add_f16_e32 v33, v23, v15
	v_sub_f16_e32 v15, v23, v15
	v_add_f16_e32 v46, v24, v26
	v_sub_f16_e32 v35, v24, v26
	v_lshrrev_b32_e32 v23, 16, v45
	v_mul_f16_sdwa v24, v45, v104 dst_sel:DWORD dst_unused:UNUSED_PAD src0_sel:DWORD src1_sel:WORD_1
	v_fma_f16 v27, v23, v104, v24
	v_lshrrev_b32_e32 v24, 16, v50
	v_mul_f16_sdwa v25, v50, v105 dst_sel:DWORD dst_unused:UNUSED_PAD src0_sel:DWORD src1_sel:WORD_1
	v_mul_f16_sdwa v23, v23, v104 dst_sel:DWORD dst_unused:UNUSED_PAD src0_sel:DWORD src1_sel:WORD_1
	v_fma_f16 v28, v24, v105, v25
	v_mul_f16_sdwa v24, v24, v105 dst_sel:DWORD dst_unused:UNUSED_PAD src0_sel:DWORD src1_sel:WORD_1
	v_fma_f16 v23, v45, v104, -v23
	v_fma_f16 v24, v50, v105, -v24
	v_add_f16_e32 v25, v23, v24
	v_sub_f16_e32 v24, v24, v23
	v_add_f16_e32 v26, v27, v28
	v_sub_f16_e32 v23, v28, v27
	v_add_f16_e32 v27, v33, v9
	v_add_f16_e32 v27, v25, v27
	;; [unrolled: 1-line block ×3, first 2 shown]
	v_sub_f16_e32 v21, v9, v25
	v_add_f16_e32 v28, v26, v28
	v_add_f16_e32 v29, v27, v52
	v_sub_f16_e32 v86, v25, v33
	v_sub_f16_e32 v22, v13, v26
	v_mul_f16_e32 v117, 0x3a52, v21
	v_add_f16_sdwa v30, v28, v52 dst_sel:DWORD dst_unused:UNUSED_PAD src0_sel:DWORD src1_sel:WORD_1
	v_fma_f16 v52, v27, s6, v29
	v_sub_f16_e32 v87, v26, v46
	v_sub_f16_e32 v26, v24, v15
	v_mul_f16_e32 v118, 0x3a52, v22
	v_fma_f16 v21, v86, s8, v117
	v_fma_f16 v50, v28, s6, v30
	v_add_f16_e32 v25, v24, v15
	v_sub_f16_e32 v113, v7, v24
	v_sub_f16_e32 v27, v23, v35
	v_mul_f16_e32 v119, 0xb846, v26
	v_add_f16_e32 v121, v21, v52
	v_fma_f16 v21, v87, s8, v118
	v_add_f16_e32 v24, v23, v35
	v_sub_f16_e32 v114, v11, v23
	v_add_f16_e32 v115, v25, v7
	v_mul_f16_e32 v120, 0xb846, v27
	v_add_f16_e32 v122, v21, v50
	v_fma_f16 v21, v113, s7, v119
	v_add_f16_e32 v116, v24, v11
	v_fma_f16 v123, v115, s12, v21
	v_fma_f16 v21, v114, s7, v120
	v_mul_lo_u16_e32 v20, 7, v5
	v_fma_f16 v124, v116, s12, v21
	v_sub_u16_e32 v45, v34, v20
	v_lshlrev_b32_e32 v31, 16, v30
	v_add_f16_e32 v21, v124, v121
	v_sub_f16_e32 v22, v122, v123
	v_mul_lo_u16_e32 v20, 6, v45
	v_or_b32_e32 v94, v31, v29
	v_pack_b32_f16 v125, v21, v22
	v_lshlrev_b32_e32 v132, 2, v20
	ds_read_b32 v48, v212 offset:9408
	ds_read2_b32 v[80:81], v159 offset0:136 offset1:185
	ds_read2_b32 v[82:83], v175 offset0:54 offset1:103
	;; [unrolled: 1-line block ×17, first 2 shown]
	global_load_dwordx2 v[134:135], v19, s[10:11] offset:16
	global_load_dwordx4 v[40:43], v19, s[10:11]
	global_load_dwordx2 v[110:111], v18, s[10:11] offset:16
	global_load_dwordx4 v[28:31], v18, s[10:11]
	;; [unrolled: 2-line block ×4, first 2 shown]
	global_load_dwordx2 v[234:235], v132, s[10:11] offset:16
	s_nop 0
	global_load_dwordx4 v[16:19], v132, s[10:11]
	v_sub_f16_e32 v7, v15, v7
	v_sub_f16_e32 v11, v35, v11
	;; [unrolled: 1-line block ×4, first 2 shown]
	v_mul_f16_e32 v15, 0x2b26, v86
	v_mul_f16_e32 v33, 0x2b26, v87
	v_fma_f16 v35, v7, s13, -v119
	v_mul_f16_e32 v7, 0xbb00, v7
	v_fma_f16 v46, v11, s13, -v120
	;; [unrolled: 2-line block ×3, first 2 shown]
	v_fma_f16 v9, v9, s3, -v117
	v_fma_f16 v33, v13, s9, -v33
	;; [unrolled: 1-line block ×3, first 2 shown]
	v_fma_f16 v7, v113, s2, v7
	v_fma_f16 v11, v114, s2, v11
	v_add_f16_e32 v9, v9, v52
	v_add_f16_e32 v13, v13, v50
	v_fma_f16 v7, v115, s12, v7
	v_fma_f16 v11, v116, s12, v11
	v_add_f16_e32 v15, v15, v52
	v_add_f16_e32 v33, v33, v50
	v_fma_f16 v35, v115, s12, v35
	v_fma_f16 v46, v116, s12, v46
	v_add_f16_e32 v50, v11, v9
	v_sub_f16_e32 v52, v13, v7
	v_pack_b32_f16 v50, v50, v52
	v_sub_f16_e32 v52, v15, v46
	v_add_f16_e32 v86, v35, v33
	v_add_f16_e32 v15, v46, v15
	v_sub_f16_e32 v33, v33, v35
	v_sub_f16_e32 v9, v9, v11
	v_add_f16_e32 v7, v7, v13
	v_pack_b32_f16 v11, v15, v33
	v_pack_b32_f16 v7, v9, v7
	s_waitcnt lgkmcnt(0)
	; wave barrier
	s_waitcnt lgkmcnt(0)
	ds_write2_b32 v233, v11, v7 offset0:28 offset1:35
	v_lshrrev_b32_e32 v7, 16, v49
	s_waitcnt vmcnt(10)
	v_mul_f16_sdwa v11, v49, v37 dst_sel:DWORD dst_unused:UNUSED_PAD src0_sel:DWORD src1_sel:WORD_1
	v_mul_f16_sdwa v9, v7, v37 dst_sel:DWORD dst_unused:UNUSED_PAD src0_sel:DWORD src1_sel:WORD_1
	v_fma_f16 v7, v7, v37, v11
	v_lshrrev_b32_e32 v11, 16, v51
	v_mul_f16_sdwa v15, v51, v39 dst_sel:DWORD dst_unused:UNUSED_PAD src0_sel:DWORD src1_sel:WORD_1
	v_pack_b32_f16 v52, v52, v86
	v_mul_f16_sdwa v13, v11, v39 dst_sel:DWORD dst_unused:UNUSED_PAD src0_sel:DWORD src1_sel:WORD_1
	v_fma_f16 v11, v11, v39, v15
	v_lshrrev_b32_e32 v15, 16, v47
	v_mov_b64_e32 v[86:87], v[90:91]
	v_mul_f16_sdwa v33, v15, v87 dst_sel:DWORD dst_unused:UNUSED_PAD src0_sel:DWORD src1_sel:WORD_1
	v_fma_f16 v9, v49, v37, -v9
	v_fma_f16 v33, v47, v87, -v33
	v_mul_f16_sdwa v35, v47, v87 dst_sel:DWORD dst_unused:UNUSED_PAD src0_sel:DWORD src1_sel:WORD_1
	v_lshrrev_b32_e32 v47, 16, v80
	v_mul_f16_sdwa v49, v80, v36 dst_sel:DWORD dst_unused:UNUSED_PAD src0_sel:DWORD src1_sel:WORD_1
	v_fma_f16 v49, v47, v36, v49
	v_mul_f16_sdwa v47, v47, v36 dst_sel:DWORD dst_unused:UNUSED_PAD src0_sel:DWORD src1_sel:WORD_1
	v_fma_f16 v15, v15, v87, v35
	v_fma_f16 v47, v80, v36, -v47
	ds_write2_b32 v233, v50, v52 offset0:14 offset1:21
	v_fma_f16 v13, v51, v39, -v13
	v_add_f16_e32 v50, v47, v33
	v_sub_f16_e32 v33, v47, v33
	v_add_f16_e32 v47, v49, v15
	v_sub_f16_e32 v15, v49, v15
	v_lshrrev_b32_e32 v49, 16, v84
	v_mul_f16_sdwa v51, v84, v86 dst_sel:DWORD dst_unused:UNUSED_PAD src0_sel:DWORD src1_sel:WORD_1
	v_fma_f16 v51, v49, v86, v51
	v_mul_f16_sdwa v49, v49, v86 dst_sel:DWORD dst_unused:UNUSED_PAD src0_sel:DWORD src1_sel:WORD_1
	v_fma_f16 v49, v84, v86, -v49
	v_add_f16_e32 v52, v9, v49
	v_sub_f16_e32 v9, v9, v49
	v_add_f16_e32 v49, v7, v51
	v_sub_f16_e32 v7, v7, v51
	v_lshrrev_b32_e32 v51, 16, v82
	v_mul_f16_sdwa v80, v82, v38 dst_sel:DWORD dst_unused:UNUSED_PAD src0_sel:DWORD src1_sel:WORD_1
	v_fma_f16 v80, v51, v38, v80
	v_mul_f16_sdwa v51, v51, v38 dst_sel:DWORD dst_unused:UNUSED_PAD src0_sel:DWORD src1_sel:WORD_1
	v_fma_f16 v51, v82, v38, -v51
	v_sub_f16_e32 v35, v121, v124
	v_add_f16_e32 v46, v123, v122
	v_add_f16_e32 v82, v51, v13
	v_sub_f16_e32 v13, v13, v51
	v_add_f16_e32 v51, v80, v11
	v_sub_f16_e32 v11, v11, v80
	v_add_f16_e32 v80, v52, v50
	v_add_f16_e32 v84, v49, v47
	;; [unrolled: 1-line block ×4, first 2 shown]
	v_pack_b32_f16 v35, v35, v46
	v_add_f16_e32 v86, v80, v53
	v_add_f16_sdwa v53, v84, v53 dst_sel:DWORD dst_unused:UNUSED_PAD src0_sel:DWORD src1_sel:WORD_1
	ds_write_b32 v233, v35 offset:168
	v_mul_u32_u24_e32 v35, 49, v126
	v_lshlrev_b32_e32 v87, 16, v53
	v_add_lshl_u32 v201, v35, v127, 2
	v_sub_f16_e32 v35, v50, v82
	v_or_b32_e32 v87, v87, v86
	v_fma_f16 v80, v80, s6, v86
	v_fma_f16 v53, v84, s6, v53
	v_sub_f16_e32 v46, v82, v52
	v_sub_f16_e32 v82, v47, v51
	;; [unrolled: 1-line block ×3, first 2 shown]
	v_add_f16_e32 v84, v13, v9
	v_sub_f16_e32 v86, v13, v9
	v_mul_f16_e32 v35, 0x3a52, v35
	v_sub_f16_e32 v50, v52, v50
	ds_write2_b32 v233, v94, v125 offset1:7
	v_sub_f16_e32 v13, v33, v13
	v_add_f16_e32 v94, v11, v7
	v_sub_f16_e32 v113, v11, v7
	v_add_f16_e32 v84, v84, v33
	v_mul_f16_e32 v82, 0x3a52, v82
	v_mul_f16_e32 v86, 0xb846, v86
	v_fma_f16 v114, v46, s8, v35
	v_sub_f16_e32 v47, v49, v47
	v_sub_f16_e32 v9, v9, v33
	v_fma_f16 v33, v50, s3, -v35
	v_mul_f16_e32 v35, 0x2b26, v51
	v_sub_f16_e32 v11, v15, v11
	v_add_f16_e32 v94, v94, v15
	v_mul_f16_e32 v113, 0xb846, v113
	v_sub_f16_e32 v7, v7, v15
	v_mul_f16_e32 v15, 0x2b26, v46
	v_fma_f16 v35, v47, s9, -v35
	v_fma_f16 v46, v47, s3, -v82
	;; [unrolled: 1-line block ×3, first 2 shown]
	v_mul_f16_e32 v9, 0xbb00, v9
	v_fma_f16 v116, v13, s7, v86
	v_fma_f16 v9, v13, s2, v9
	v_fma_f16 v13, v7, s13, -v113
	v_mul_f16_e32 v7, 0xbb00, v7
	v_fma_f16 v15, v50, s9, -v15
	v_fma_f16 v7, v11, s2, v7
	v_fma_f16 v117, v11, s7, v113
	v_add_f16_e32 v11, v15, v80
	v_add_f16_e32 v15, v33, v80
	;; [unrolled: 1-line block ×4, first 2 shown]
	v_fma_f16 v9, v84, s12, v9
	v_fma_f16 v7, v94, s12, v7
	;; [unrolled: 1-line block ×4, first 2 shown]
	v_add_f16_e32 v47, v7, v15
	v_sub_f16_e32 v49, v35, v9
	v_pack_b32_f16 v47, v47, v49
	v_sub_f16_e32 v49, v11, v13
	v_add_f16_e32 v50, v46, v33
	v_add_f16_e32 v11, v13, v11
	v_sub_f16_e32 v13, v33, v46
	v_sub_f16_e32 v7, v15, v7
	v_add_f16_e32 v9, v9, v35
	v_pack_b32_f16 v49, v49, v50
	v_pack_b32_f16 v11, v11, v13
	;; [unrolled: 1-line block ×3, first 2 shown]
	ds_write2_b32 v201, v47, v49 offset0:14 offset1:21
	ds_write2_b32 v201, v11, v7 offset0:28 offset1:35
	v_lshrrev_b32_e32 v7, 16, v81
	v_lshrrev_b32_e32 v47, 16, v76
	s_waitcnt vmcnt(9)
	v_mul_f16_sdwa v49, v76, v135 dst_sel:DWORD dst_unused:UNUSED_PAD src0_sel:DWORD src1_sel:WORD_1
	s_waitcnt vmcnt(8)
	v_mul_f16_sdwa v9, v7, v40 dst_sel:DWORD dst_unused:UNUSED_PAD src0_sel:DWORD src1_sel:WORD_1
	v_mul_f16_sdwa v11, v81, v40 dst_sel:DWORD dst_unused:UNUSED_PAD src0_sel:DWORD src1_sel:WORD_1
	v_fma_f16 v49, v47, v135, v49
	v_mul_f16_sdwa v47, v47, v135 dst_sel:DWORD dst_unused:UNUSED_PAD src0_sel:DWORD src1_sel:WORD_1
	v_fma_f16 v9, v81, v40, -v9
	v_fma_f16 v7, v7, v40, v11
	v_lshrrev_b32_e32 v11, 16, v83
	v_mul_f16_sdwa v15, v83, v42 dst_sel:DWORD dst_unused:UNUSED_PAD src0_sel:DWORD src1_sel:WORD_1
	v_fma_f16 v47, v76, v135, -v47
	v_fma_f16 v115, v51, s8, v82
	v_mul_f16_sdwa v13, v11, v42 dst_sel:DWORD dst_unused:UNUSED_PAD src0_sel:DWORD src1_sel:WORD_1
	v_fma_f16 v11, v11, v42, v15
	v_lshrrev_b32_e32 v15, 16, v85
	v_add_f16_e32 v50, v9, v47
	v_sub_f16_e32 v9, v9, v47
	v_add_f16_e32 v47, v7, v49
	v_sub_f16_e32 v7, v7, v49
	v_lshrrev_b32_e32 v49, 16, v92
	v_mul_f16_sdwa v51, v92, v41 dst_sel:DWORD dst_unused:UNUSED_PAD src0_sel:DWORD src1_sel:WORD_1
	v_mul_f16_sdwa v33, v15, v134 dst_sel:DWORD dst_unused:UNUSED_PAD src0_sel:DWORD src1_sel:WORD_1
	;; [unrolled: 1-line block ×3, first 2 shown]
	v_fma_f16 v51, v49, v41, v51
	v_mul_f16_sdwa v49, v49, v41 dst_sel:DWORD dst_unused:UNUSED_PAD src0_sel:DWORD src1_sel:WORD_1
	v_fma_f16 v33, v85, v134, -v33
	v_fma_f16 v15, v15, v134, v35
	v_fma_f16 v49, v92, v41, -v49
	v_add_f16_e32 v115, v115, v53
	v_add_f16_e32 v52, v49, v33
	v_sub_f16_e32 v33, v49, v33
	v_add_f16_e32 v49, v51, v15
	v_sub_f16_e32 v15, v51, v15
	v_lshrrev_b32_e32 v51, 16, v78
	v_mul_f16_sdwa v53, v78, v43 dst_sel:DWORD dst_unused:UNUSED_PAD src0_sel:DWORD src1_sel:WORD_1
	v_fma_f16 v53, v51, v43, v53
	v_mul_f16_sdwa v51, v51, v43 dst_sel:DWORD dst_unused:UNUSED_PAD src0_sel:DWORD src1_sel:WORD_1
	v_add_f16_e32 v114, v114, v80
	v_fma_f16 v116, v84, s12, v116
	v_fma_f16 v117, v94, s12, v117
	v_fma_f16 v13, v83, v42, -v13
	v_fma_f16 v51, v78, v43, -v51
	v_sub_f16_e32 v35, v114, v117
	v_add_f16_e32 v46, v116, v115
	v_add_f16_e32 v76, v13, v51
	v_sub_f16_e32 v13, v51, v13
	v_add_f16_e32 v51, v11, v53
	v_sub_f16_e32 v11, v53, v11
	v_add_f16_e32 v53, v52, v50
	v_add_f16_e32 v78, v49, v47
	;; [unrolled: 1-line block ×4, first 2 shown]
	v_pack_b32_f16 v35, v35, v46
	v_add_f16_e32 v80, v53, v74
	v_add_f16_sdwa v74, v78, v74 dst_sel:DWORD dst_unused:UNUSED_PAD src0_sel:DWORD src1_sel:WORD_1
	ds_write_b32 v201, v35 offset:168
	v_mul_u32_u24_e32 v35, 49, v128
	v_lshlrev_b32_e32 v81, 16, v74
	v_add_lshl_u32 v179, v35, v129, 2
	v_sub_f16_e32 v35, v50, v76
	v_or_b32_e32 v81, v81, v80
	v_fma_f16 v53, v53, s6, v80
	v_fma_f16 v74, v78, s6, v74
	v_sub_f16_e32 v46, v76, v52
	v_sub_f16_e32 v76, v47, v51
	;; [unrolled: 1-line block ×3, first 2 shown]
	v_add_f16_e32 v78, v13, v33
	v_sub_f16_e32 v80, v13, v33
	v_mul_f16_e32 v35, 0x3a52, v35
	v_sub_f16_e32 v50, v52, v50
	v_sub_f16_e32 v13, v9, v13
	v_add_f16_e32 v82, v11, v15
	v_sub_f16_e32 v83, v11, v15
	v_add_f16_e32 v78, v78, v9
	v_mul_f16_e32 v76, 0x3a52, v76
	v_mul_f16_e32 v80, 0xb846, v80
	v_fma_f16 v84, v46, s8, v35
	v_sub_f16_e32 v47, v49, v47
	v_sub_f16_e32 v9, v33, v9
	v_fma_f16 v33, v50, s3, -v35
	v_mul_f16_e32 v35, 0x2b26, v51
	v_sub_f16_e32 v11, v7, v11
	v_add_f16_e32 v82, v82, v7
	v_mul_f16_e32 v83, 0xb846, v83
	v_sub_f16_e32 v7, v15, v7
	v_mul_f16_e32 v15, 0x2b26, v46
	v_fma_f16 v35, v47, s9, -v35
	v_fma_f16 v46, v47, s3, -v76
	;; [unrolled: 1-line block ×3, first 2 shown]
	v_mul_f16_e32 v9, 0xbb00, v9
	v_add_f16_e32 v118, v117, v114
	v_sub_f16_e32 v119, v115, v116
	v_fma_f16 v86, v13, s7, v80
	v_fma_f16 v9, v13, s2, v9
	v_fma_f16 v13, v7, s13, -v83
	v_mul_f16_e32 v7, 0xbb00, v7
	v_pack_b32_f16 v118, v118, v119
	v_fma_f16 v15, v50, s9, -v15
	v_fma_f16 v7, v11, s2, v7
	ds_write2_b32 v201, v87, v118 offset1:7
	v_fma_f16 v87, v11, s7, v83
	v_add_f16_e32 v11, v15, v53
	v_add_f16_e32 v15, v33, v53
	;; [unrolled: 1-line block ×4, first 2 shown]
	v_fma_f16 v9, v78, s12, v9
	v_fma_f16 v7, v82, s12, v7
	;; [unrolled: 1-line block ×4, first 2 shown]
	v_add_f16_e32 v47, v7, v15
	v_sub_f16_e32 v49, v35, v9
	v_pack_b32_f16 v47, v47, v49
	v_sub_f16_e32 v49, v11, v13
	v_add_f16_e32 v11, v13, v11
	v_sub_f16_e32 v13, v33, v46
	v_sub_f16_e32 v7, v15, v7
	v_add_f16_e32 v9, v9, v35
	v_pack_b32_f16 v11, v11, v13
	v_pack_b32_f16 v7, v7, v9
	v_add_f16_e32 v50, v46, v33
	ds_write2_b32 v179, v11, v7 offset0:28 offset1:35
	v_lshrrev_b32_e32 v7, 16, v93
	s_waitcnt vmcnt(6)
	v_mul_f16_sdwa v11, v93, v29 dst_sel:DWORD dst_unused:UNUSED_PAD src0_sel:DWORD src1_sel:WORD_1
	v_pack_b32_f16 v49, v49, v50
	v_mul_f16_sdwa v9, v7, v29 dst_sel:DWORD dst_unused:UNUSED_PAD src0_sel:DWORD src1_sel:WORD_1
	v_fma_f16 v7, v7, v29, v11
	v_lshrrev_b32_e32 v11, 16, v79
	v_mul_f16_sdwa v15, v79, v31 dst_sel:DWORD dst_unused:UNUSED_PAD src0_sel:DWORD src1_sel:WORD_1
	ds_write2_b32 v179, v47, v49 offset0:14 offset1:21
	v_mul_f16_sdwa v13, v11, v31 dst_sel:DWORD dst_unused:UNUSED_PAD src0_sel:DWORD src1_sel:WORD_1
	v_fma_f16 v11, v11, v31, v15
	v_lshrrev_b32_e32 v15, 16, v77
	v_lshrrev_b32_e32 v47, 16, v72
	v_mul_f16_sdwa v49, v72, v28 dst_sel:DWORD dst_unused:UNUSED_PAD src0_sel:DWORD src1_sel:WORD_1
	v_mul_f16_sdwa v33, v15, v111 dst_sel:DWORD dst_unused:UNUSED_PAD src0_sel:DWORD src1_sel:WORD_1
	;; [unrolled: 1-line block ×3, first 2 shown]
	v_fma_f16 v49, v47, v28, v49
	v_mul_f16_sdwa v47, v47, v28 dst_sel:DWORD dst_unused:UNUSED_PAD src0_sel:DWORD src1_sel:WORD_1
	v_fma_f16 v33, v77, v111, -v33
	v_fma_f16 v15, v15, v111, v35
	v_fma_f16 v47, v72, v28, -v47
	v_fma_f16 v85, v51, s8, v76
	v_add_f16_e32 v50, v47, v33
	v_sub_f16_e32 v33, v47, v33
	v_add_f16_e32 v47, v49, v15
	v_sub_f16_e32 v15, v49, v15
	v_lshrrev_b32_e32 v49, 16, v68
	v_mul_f16_sdwa v51, v68, v110 dst_sel:DWORD dst_unused:UNUSED_PAD src0_sel:DWORD src1_sel:WORD_1
	v_fma_f16 v51, v49, v110, v51
	v_mul_f16_sdwa v49, v49, v110 dst_sel:DWORD dst_unused:UNUSED_PAD src0_sel:DWORD src1_sel:WORD_1
	v_fma_f16 v9, v93, v29, -v9
	v_fma_f16 v49, v68, v110, -v49
	v_add_f16_e32 v84, v84, v53
	v_add_f16_e32 v52, v9, v49
	v_sub_f16_e32 v9, v9, v49
	v_add_f16_e32 v49, v7, v51
	v_sub_f16_e32 v7, v7, v51
	v_lshrrev_b32_e32 v51, 16, v70
	v_mul_f16_sdwa v53, v70, v30 dst_sel:DWORD dst_unused:UNUSED_PAD src0_sel:DWORD src1_sel:WORD_1
	v_fma_f16 v53, v51, v30, v53
	v_mul_f16_sdwa v51, v51, v30 dst_sel:DWORD dst_unused:UNUSED_PAD src0_sel:DWORD src1_sel:WORD_1
	v_add_f16_e32 v85, v85, v74
	v_fma_f16 v86, v78, s12, v86
	v_fma_f16 v87, v82, s12, v87
	v_fma_f16 v13, v79, v31, -v13
	v_fma_f16 v51, v70, v30, -v51
	v_sub_f16_e32 v35, v84, v87
	v_add_f16_e32 v46, v86, v85
	v_add_f16_e32 v68, v51, v13
	v_sub_f16_e32 v13, v13, v51
	v_add_f16_e32 v51, v53, v11
	v_add_f16_e32 v70, v49, v47
	;; [unrolled: 3-line block ×3, first 2 shown]
	v_pack_b32_f16 v35, v35, v46
	v_add_f16_e32 v53, v68, v53
	v_add_f16_sdwa v74, v70, v75 dst_sel:DWORD dst_unused:UNUSED_PAD src0_sel:DWORD src1_sel:WORD_1
	ds_write_b32 v179, v35 offset:168
	v_mul_u32_u24_e32 v35, 49, v130
	v_add_f16_e32 v72, v53, v75
	v_lshlrev_b32_e32 v75, 16, v74
	v_add_lshl_u32 v223, v35, v131, 2
	v_sub_f16_e32 v35, v50, v68
	v_or_b32_e32 v75, v75, v72
	v_fma_f16 v53, v53, s6, v72
	v_fma_f16 v70, v70, s6, v74
	v_sub_f16_e32 v46, v68, v52
	v_sub_f16_e32 v68, v47, v51
	;; [unrolled: 1-line block ×3, first 2 shown]
	v_add_f16_e32 v72, v13, v9
	v_sub_f16_e32 v74, v13, v9
	v_mul_f16_e32 v35, 0x3a52, v35
	v_sub_f16_e32 v50, v52, v50
	v_sub_f16_e32 v13, v33, v13
	v_add_f16_e32 v76, v11, v7
	v_sub_f16_e32 v77, v11, v7
	v_add_f16_e32 v72, v72, v33
	v_mul_f16_e32 v68, 0x3a52, v68
	v_mul_f16_e32 v74, 0xb846, v74
	v_fma_f16 v78, v46, s8, v35
	v_sub_f16_e32 v47, v49, v47
	v_sub_f16_e32 v9, v9, v33
	v_fma_f16 v33, v50, s3, -v35
	v_mul_f16_e32 v35, 0x2b26, v51
	v_sub_f16_e32 v11, v15, v11
	v_add_f16_e32 v76, v76, v15
	v_mul_f16_e32 v77, 0xb846, v77
	v_sub_f16_e32 v7, v7, v15
	v_mul_f16_e32 v15, 0x2b26, v46
	v_fma_f16 v35, v47, s9, -v35
	v_fma_f16 v46, v47, s3, -v68
	;; [unrolled: 1-line block ×3, first 2 shown]
	v_mul_f16_e32 v9, 0xbb00, v9
	v_add_f16_e32 v92, v87, v84
	v_sub_f16_e32 v94, v85, v86
	v_fma_f16 v80, v13, s7, v74
	v_fma_f16 v9, v13, s2, v9
	v_fma_f16 v13, v7, s13, -v77
	v_mul_f16_e32 v7, 0xbb00, v7
	v_pack_b32_f16 v92, v92, v94
	v_fma_f16 v15, v50, s9, -v15
	v_fma_f16 v7, v11, s2, v7
	ds_write2_b32 v179, v81, v92 offset1:7
	v_fma_f16 v81, v11, s7, v77
	v_add_f16_e32 v11, v15, v53
	v_add_f16_e32 v15, v33, v53
	;; [unrolled: 1-line block ×4, first 2 shown]
	v_fma_f16 v9, v72, s12, v9
	v_fma_f16 v7, v76, s12, v7
	;; [unrolled: 1-line block ×4, first 2 shown]
	v_add_f16_e32 v47, v7, v15
	v_sub_f16_e32 v49, v35, v9
	v_pack_b32_f16 v47, v47, v49
	v_sub_f16_e32 v49, v11, v13
	v_add_f16_e32 v50, v46, v33
	v_add_f16_e32 v11, v13, v11
	v_sub_f16_e32 v13, v33, v46
	v_sub_f16_e32 v7, v15, v7
	v_add_f16_e32 v9, v9, v35
	v_pack_b32_f16 v49, v49, v50
	v_pack_b32_f16 v11, v11, v13
	;; [unrolled: 1-line block ×3, first 2 shown]
	ds_write2_b32 v223, v47, v49 offset0:14 offset1:21
	ds_write2_b32 v223, v11, v7 offset0:28 offset1:35
	v_lshrrev_b32_e32 v7, 16, v73
	v_lshrrev_b32_e32 v47, 16, v62
	s_waitcnt vmcnt(5)
	v_mul_f16_sdwa v49, v62, v109 dst_sel:DWORD dst_unused:UNUSED_PAD src0_sel:DWORD src1_sel:WORD_1
	s_waitcnt vmcnt(4)
	v_mul_f16_sdwa v9, v7, v24 dst_sel:DWORD dst_unused:UNUSED_PAD src0_sel:DWORD src1_sel:WORD_1
	v_mul_f16_sdwa v11, v73, v24 dst_sel:DWORD dst_unused:UNUSED_PAD src0_sel:DWORD src1_sel:WORD_1
	v_fma_f16 v49, v47, v109, v49
	v_mul_f16_sdwa v47, v47, v109 dst_sel:DWORD dst_unused:UNUSED_PAD src0_sel:DWORD src1_sel:WORD_1
	v_fma_f16 v9, v73, v24, -v9
	v_fma_f16 v7, v7, v24, v11
	v_lshrrev_b32_e32 v11, 16, v71
	v_mul_f16_sdwa v15, v71, v26 dst_sel:DWORD dst_unused:UNUSED_PAD src0_sel:DWORD src1_sel:WORD_1
	v_fma_f16 v47, v62, v109, -v47
	v_fma_f16 v79, v51, s8, v68
	v_mul_f16_sdwa v13, v11, v26 dst_sel:DWORD dst_unused:UNUSED_PAD src0_sel:DWORD src1_sel:WORD_1
	v_fma_f16 v11, v11, v26, v15
	v_lshrrev_b32_e32 v15, 16, v69
	v_add_f16_e32 v50, v9, v47
	v_sub_f16_e32 v9, v9, v47
	v_add_f16_e32 v47, v7, v49
	v_sub_f16_e32 v7, v7, v49
	v_lshrrev_b32_e32 v49, 16, v66
	v_mul_f16_sdwa v51, v66, v25 dst_sel:DWORD dst_unused:UNUSED_PAD src0_sel:DWORD src1_sel:WORD_1
	v_mul_f16_sdwa v33, v15, v108 dst_sel:DWORD dst_unused:UNUSED_PAD src0_sel:DWORD src1_sel:WORD_1
	;; [unrolled: 1-line block ×3, first 2 shown]
	v_fma_f16 v51, v49, v25, v51
	v_mul_f16_sdwa v49, v49, v25 dst_sel:DWORD dst_unused:UNUSED_PAD src0_sel:DWORD src1_sel:WORD_1
	v_fma_f16 v33, v69, v108, -v33
	v_fma_f16 v15, v15, v108, v35
	v_fma_f16 v49, v66, v25, -v49
	v_add_f16_e32 v78, v78, v53
	v_add_f16_e32 v52, v49, v33
	v_sub_f16_e32 v33, v49, v33
	v_add_f16_e32 v49, v51, v15
	v_sub_f16_e32 v15, v51, v15
	v_lshrrev_b32_e32 v51, 16, v64
	v_mul_f16_sdwa v53, v64, v27 dst_sel:DWORD dst_unused:UNUSED_PAD src0_sel:DWORD src1_sel:WORD_1
	v_fma_f16 v53, v51, v27, v53
	v_mul_f16_sdwa v51, v51, v27 dst_sel:DWORD dst_unused:UNUSED_PAD src0_sel:DWORD src1_sel:WORD_1
	v_add_f16_e32 v79, v79, v70
	v_fma_f16 v80, v72, s12, v80
	v_fma_f16 v81, v76, s12, v81
	v_fma_f16 v13, v71, v26, -v13
	v_fma_f16 v51, v64, v27, -v51
	v_sub_f16_e32 v35, v78, v81
	v_add_f16_e32 v46, v80, v79
	v_add_f16_e32 v62, v13, v51
	v_sub_f16_e32 v13, v51, v13
	v_add_f16_e32 v51, v11, v53
	v_sub_f16_e32 v11, v53, v11
	v_add_f16_e32 v53, v52, v50
	v_add_f16_e32 v64, v49, v47
	v_add_f16_e32 v53, v62, v53
	v_add_f16_e32 v64, v51, v64
	v_pack_b32_f16 v35, v35, v46
	v_add_f16_e32 v66, v53, v60
	v_add_f16_sdwa v60, v64, v60 dst_sel:DWORD dst_unused:UNUSED_PAD src0_sel:DWORD src1_sel:WORD_1
	ds_write_b32 v223, v35 offset:168
	v_mul_u32_u24_e32 v35, 49, v1
	v_lshlrev_b32_e32 v68, 16, v60
	v_add_lshl_u32 v205, v35, v112, 2
	v_sub_f16_e32 v35, v50, v62
	v_or_b32_e32 v68, v68, v66
	v_fma_f16 v53, v53, s6, v66
	v_fma_f16 v60, v64, s6, v60
	v_sub_f16_e32 v46, v62, v52
	v_sub_f16_e32 v62, v47, v51
	;; [unrolled: 1-line block ×3, first 2 shown]
	v_add_f16_e32 v64, v13, v33
	v_sub_f16_e32 v66, v13, v33
	v_mul_f16_e32 v35, 0x3a52, v35
	v_sub_f16_e32 v50, v52, v50
	v_sub_f16_e32 v13, v9, v13
	v_add_f16_e32 v69, v11, v15
	v_sub_f16_e32 v70, v11, v15
	v_add_f16_e32 v64, v64, v9
	v_mul_f16_e32 v62, 0x3a52, v62
	v_mul_f16_e32 v66, 0xb846, v66
	v_fma_f16 v71, v46, s8, v35
	v_sub_f16_e32 v47, v49, v47
	v_sub_f16_e32 v9, v33, v9
	v_fma_f16 v33, v50, s3, -v35
	v_mul_f16_e32 v35, 0x2b26, v51
	v_sub_f16_e32 v11, v7, v11
	v_add_f16_e32 v69, v69, v7
	v_mul_f16_e32 v70, 0xb846, v70
	v_sub_f16_e32 v7, v15, v7
	v_mul_f16_e32 v15, 0x2b26, v46
	v_fma_f16 v35, v47, s9, -v35
	v_fma_f16 v46, v47, s3, -v62
	;; [unrolled: 1-line block ×3, first 2 shown]
	v_mul_f16_e32 v9, 0xbb00, v9
	v_fma_f16 v73, v13, s7, v66
	v_fma_f16 v9, v13, s2, v9
	v_fma_f16 v13, v7, s13, -v70
	v_mul_f16_e32 v7, 0xbb00, v7
	v_fma_f16 v15, v50, s9, -v15
	v_fma_f16 v7, v11, s2, v7
	v_fma_f16 v74, v11, s7, v70
	v_add_f16_e32 v11, v15, v53
	v_add_f16_e32 v15, v33, v53
	;; [unrolled: 1-line block ×4, first 2 shown]
	v_fma_f16 v9, v64, s12, v9
	v_fma_f16 v7, v69, s12, v7
	;; [unrolled: 1-line block ×4, first 2 shown]
	v_add_f16_e32 v47, v7, v15
	v_sub_f16_e32 v49, v35, v9
	v_add_f16_e32 v82, v81, v78
	v_sub_f16_e32 v83, v79, v80
	v_pack_b32_f16 v47, v47, v49
	v_sub_f16_e32 v49, v11, v13
	v_add_f16_e32 v11, v13, v11
	v_sub_f16_e32 v13, v33, v46
	v_sub_f16_e32 v7, v15, v7
	v_add_f16_e32 v9, v9, v35
	v_pack_b32_f16 v82, v82, v83
	v_pack_b32_f16 v11, v11, v13
	;; [unrolled: 1-line block ×3, first 2 shown]
	ds_write2_b32 v223, v75, v82 offset1:7
	v_add_f16_e32 v50, v46, v33
	ds_write2_b32 v205, v11, v7 offset0:28 offset1:35
	v_lshrrev_b32_e32 v7, 16, v67
	s_waitcnt vmcnt(2)
	v_mul_f16_sdwa v11, v67, v21 dst_sel:DWORD dst_unused:UNUSED_PAD src0_sel:DWORD src1_sel:WORD_1
	v_pack_b32_f16 v49, v49, v50
	v_mul_f16_sdwa v9, v7, v21 dst_sel:DWORD dst_unused:UNUSED_PAD src0_sel:DWORD src1_sel:WORD_1
	v_fma_f16 v7, v7, v21, v11
	v_lshrrev_b32_e32 v11, 16, v65
	v_mul_f16_sdwa v15, v65, v23 dst_sel:DWORD dst_unused:UNUSED_PAD src0_sel:DWORD src1_sel:WORD_1
	ds_write2_b32 v205, v47, v49 offset0:14 offset1:21
	v_mul_f16_sdwa v13, v11, v23 dst_sel:DWORD dst_unused:UNUSED_PAD src0_sel:DWORD src1_sel:WORD_1
	v_fma_f16 v11, v11, v23, v15
	v_lshrrev_b32_e32 v15, 16, v63
	v_lshrrev_b32_e32 v47, 16, v58
	v_mul_f16_sdwa v49, v58, v20 dst_sel:DWORD dst_unused:UNUSED_PAD src0_sel:DWORD src1_sel:WORD_1
	v_mul_f16_sdwa v33, v15, v107 dst_sel:DWORD dst_unused:UNUSED_PAD src0_sel:DWORD src1_sel:WORD_1
	;; [unrolled: 1-line block ×3, first 2 shown]
	v_fma_f16 v49, v47, v20, v49
	v_mul_f16_sdwa v47, v47, v20 dst_sel:DWORD dst_unused:UNUSED_PAD src0_sel:DWORD src1_sel:WORD_1
	v_fma_f16 v33, v63, v107, -v33
	v_fma_f16 v15, v15, v107, v35
	v_fma_f16 v47, v58, v20, -v47
	v_fma_f16 v72, v51, s8, v62
	v_add_f16_e32 v50, v47, v33
	v_sub_f16_e32 v33, v47, v33
	v_add_f16_e32 v47, v49, v15
	v_sub_f16_e32 v15, v49, v15
	v_lshrrev_b32_e32 v49, 16, v54
	v_mul_f16_sdwa v51, v54, v106 dst_sel:DWORD dst_unused:UNUSED_PAD src0_sel:DWORD src1_sel:WORD_1
	v_fma_f16 v51, v49, v106, v51
	v_mul_f16_sdwa v49, v49, v106 dst_sel:DWORD dst_unused:UNUSED_PAD src0_sel:DWORD src1_sel:WORD_1
	v_fma_f16 v9, v67, v21, -v9
	v_fma_f16 v49, v54, v106, -v49
	v_add_f16_e32 v71, v71, v53
	v_add_f16_e32 v52, v9, v49
	v_sub_f16_e32 v9, v9, v49
	v_add_f16_e32 v49, v7, v51
	v_sub_f16_e32 v7, v7, v51
	v_lshrrev_b32_e32 v51, 16, v56
	v_mul_f16_sdwa v53, v56, v22 dst_sel:DWORD dst_unused:UNUSED_PAD src0_sel:DWORD src1_sel:WORD_1
	v_fma_f16 v53, v51, v22, v53
	v_mul_f16_sdwa v51, v51, v22 dst_sel:DWORD dst_unused:UNUSED_PAD src0_sel:DWORD src1_sel:WORD_1
	v_fma_f16 v13, v65, v23, -v13
	v_fma_f16 v51, v56, v22, -v51
	v_add_f16_e32 v72, v72, v60
	v_fma_f16 v73, v64, s12, v73
	v_fma_f16 v74, v69, s12, v74
	v_add_f16_e32 v54, v51, v13
	v_sub_f16_e32 v13, v13, v51
	v_add_f16_e32 v51, v53, v11
	v_add_f16_e32 v56, v49, v47
	v_sub_f16_e32 v35, v71, v74
	v_add_f16_e32 v46, v73, v72
	v_sub_f16_e32 v11, v11, v53
	v_add_f16_e32 v53, v52, v50
	v_add_f16_e32 v56, v51, v56
	;; [unrolled: 1-line block ×3, first 2 shown]
	v_add_f16_sdwa v60, v56, v61 dst_sel:DWORD dst_unused:UNUSED_PAD src0_sel:DWORD src1_sel:WORD_1
	v_pack_b32_f16 v35, v35, v46
	v_add_f16_e32 v58, v53, v61
	v_lshlrev_b32_e32 v61, 16, v60
	ds_write_b32 v205, v35 offset:168
	v_mad_legacy_u16 v35, v95, 49, v0
	v_sub_f16_e32 v46, v50, v54
	v_sub_f16_e32 v54, v54, v52
	v_add_f16_e32 v63, v11, v7
	v_or_b32_e32 v61, v61, v58
	v_fma_f16 v53, v53, s6, v58
	v_fma_f16 v56, v56, s6, v60
	v_sub_f16_e32 v58, v47, v51
	v_sub_f16_e32 v51, v51, v49
	v_add_f16_e32 v60, v13, v9
	v_sub_f16_e32 v62, v13, v9
	v_sub_f16_e32 v64, v11, v7
	;; [unrolled: 1-line block ×3, first 2 shown]
	v_add_f16_e32 v63, v63, v15
	v_mul_f16_e32 v46, 0x3a52, v46
	v_lshlrev_b32_e32 v171, 2, v35
	v_sub_f16_e32 v35, v52, v50
	v_sub_f16_e32 v7, v7, v15
	v_mul_f16_e32 v15, 0x2b26, v54
	v_sub_f16_e32 v13, v33, v13
	v_add_f16_e32 v60, v60, v33
	v_mul_f16_e32 v58, 0x3a52, v58
	v_mul_f16_e32 v62, 0xb846, v62
	v_sub_f16_e32 v47, v49, v47
	v_sub_f16_e32 v9, v9, v33
	v_fma_f16 v15, v35, s9, -v15
	v_fma_f16 v33, v35, s3, -v46
	v_mul_f16_e32 v35, 0x2b26, v51
	v_mul_f16_e32 v64, 0xb846, v64
	v_fma_f16 v65, v54, s8, v46
	v_fma_f16 v35, v47, s9, -v35
	v_fma_f16 v46, v47, s3, -v58
	;; [unrolled: 1-line block ×3, first 2 shown]
	v_mul_f16_e32 v9, 0xbb00, v9
	v_add_f16_e32 v75, v74, v71
	v_sub_f16_e32 v76, v72, v73
	v_fma_f16 v67, v13, s7, v62
	v_fma_f16 v9, v13, s2, v9
	v_fma_f16 v13, v7, s13, -v64
	v_mul_f16_e32 v7, 0xbb00, v7
	v_pack_b32_f16 v75, v75, v76
	v_fma_f16 v7, v11, s2, v7
	ds_write2_b32 v205, v68, v75 offset1:7
	v_fma_f16 v68, v11, s7, v64
	v_add_f16_e32 v11, v15, v53
	v_add_f16_e32 v15, v33, v53
	;; [unrolled: 1-line block ×4, first 2 shown]
	v_fma_f16 v9, v60, s12, v9
	v_fma_f16 v7, v63, s12, v7
	;; [unrolled: 1-line block ×4, first 2 shown]
	v_add_f16_e32 v47, v7, v15
	v_sub_f16_e32 v49, v35, v9
	v_pack_b32_f16 v47, v47, v49
	v_sub_f16_e32 v49, v11, v13
	v_add_f16_e32 v11, v13, v11
	v_sub_f16_e32 v13, v33, v46
	v_sub_f16_e32 v7, v15, v7
	v_add_f16_e32 v9, v9, v35
	v_pack_b32_f16 v11, v11, v13
	v_pack_b32_f16 v7, v7, v9
	ds_write2_b32 v171, v11, v7 offset0:28 offset1:35
	v_lshrrev_b32_e32 v7, 16, v59
	s_waitcnt vmcnt(0)
	v_mul_f16_sdwa v11, v59, v16 dst_sel:DWORD dst_unused:UNUSED_PAD src0_sel:DWORD src1_sel:WORD_1
	v_mul_f16_sdwa v9, v7, v16 dst_sel:DWORD dst_unused:UNUSED_PAD src0_sel:DWORD src1_sel:WORD_1
	v_fma_f16 v7, v7, v16, v11
	v_lshrrev_b32_e32 v11, 16, v44
	v_mul_f16_sdwa v15, v44, v17 dst_sel:DWORD dst_unused:UNUSED_PAD src0_sel:DWORD src1_sel:WORD_1
	v_mul_f16_sdwa v13, v11, v17 dst_sel:DWORD dst_unused:UNUSED_PAD src0_sel:DWORD src1_sel:WORD_1
	v_fma_f16 v11, v11, v17, v15
	v_lshrrev_b32_e32 v15, 16, v57
	v_mul_f16_sdwa v35, v57, v18 dst_sel:DWORD dst_unused:UNUSED_PAD src0_sel:DWORD src1_sel:WORD_1
	v_add_f16_e32 v50, v46, v33
	v_mul_f16_sdwa v33, v15, v18 dst_sel:DWORD dst_unused:UNUSED_PAD src0_sel:DWORD src1_sel:WORD_1
	v_fma_f16 v15, v15, v18, v35
	v_lshrrev_b32_e32 v35, 16, v14
	v_fma_f16 v13, v44, v17, -v13
	v_mul_f16_sdwa v44, v35, v19 dst_sel:DWORD dst_unused:UNUSED_PAD src0_sel:DWORD src1_sel:WORD_1
	v_pack_b32_f16 v49, v49, v50
	v_fma_f16 v44, v14, v19, -v44
	v_mul_f16_sdwa v14, v14, v19 dst_sel:DWORD dst_unused:UNUSED_PAD src0_sel:DWORD src1_sel:WORD_1
	ds_write2_b32 v171, v47, v49 offset0:14 offset1:21
	v_fma_f16 v14, v35, v19, v14
	v_lshrrev_b32_e32 v35, 16, v55
	v_mul_f16_sdwa v47, v55, v234 dst_sel:DWORD dst_unused:UNUSED_PAD src0_sel:DWORD src1_sel:WORD_1
	v_mul_f16_sdwa v46, v35, v234 dst_sel:DWORD dst_unused:UNUSED_PAD src0_sel:DWORD src1_sel:WORD_1
	v_fma_f16 v35, v35, v234, v47
	v_lshrrev_b32_e32 v47, 16, v48
	v_mul_f16_sdwa v49, v47, v235 dst_sel:DWORD dst_unused:UNUSED_PAD src0_sel:DWORD src1_sel:WORD_1
	v_fma_f16 v49, v48, v235, -v49
	v_mul_f16_sdwa v48, v48, v235 dst_sel:DWORD dst_unused:UNUSED_PAD src0_sel:DWORD src1_sel:WORD_1
	v_fma_f16 v9, v59, v16, -v9
	v_fma_f16 v46, v55, v234, -v46
	v_fma_f16 v47, v47, v235, v48
	v_fma_f16 v66, v51, s8, v58
	v_fma_f16 v33, v57, v18, -v33
	v_add_f16_e32 v51, v9, v49
	v_sub_f16_e32 v9, v9, v49
	v_add_f16_e32 v49, v7, v47
	v_sub_f16_e32 v7, v7, v47
	;; [unrolled: 2-line block ×3, first 2 shown]
	v_add_f16_e32 v46, v11, v35
	v_add_f16_e32 v65, v65, v53
	;; [unrolled: 1-line block ×3, first 2 shown]
	v_fma_f16 v67, v60, s12, v67
	v_fma_f16 v68, v63, s12, v68
	v_sub_f16_e32 v11, v11, v35
	v_add_f16_e32 v35, v33, v44
	v_sub_f16_e32 v33, v44, v33
	v_add_f16_e32 v44, v15, v14
	;; [unrolled: 2-line block ×3, first 2 shown]
	v_add_f16_e32 v52, v46, v49
	v_sub_f16_e32 v48, v65, v68
	v_add_f16_e32 v50, v67, v66
	v_add_f16_e32 v15, v35, v15
	;; [unrolled: 1-line block ×4, first 2 shown]
	v_add_f16_sdwa v12, v52, v12 dst_sel:DWORD dst_unused:UNUSED_PAD src0_sel:DWORD src1_sel:WORD_1
	v_pack_b32_f16 v48, v48, v50
	v_lshlrev_b32_e32 v54, 16, v12
	v_fma_f16 v12, v52, s6, v12
	ds_write_b32 v171, v48 offset:168
	v_sub_f16_e32 v48, v49, v44
	v_add_f16_e32 v50, v33, v13
	v_sub_f16_e32 v52, v33, v13
	v_or_b32_e32 v54, v54, v53
	v_fma_f16 v15, v15, s6, v53
	v_sub_f16_e32 v44, v44, v46
	v_sub_f16_e32 v33, v9, v33
	v_add_f16_e32 v53, v14, v11
	v_sub_f16_e32 v55, v14, v11
	v_add_f16_e32 v50, v50, v9
	v_mul_f16_e32 v48, 0x3a52, v48
	v_mul_f16_e32 v52, 0xb846, v52
	v_sub_f16_e32 v9, v13, v9
	v_mad_legacy_u16 v5, v5, 49, v45
	v_sub_f16_e32 v45, v51, v35
	v_sub_f16_e32 v35, v35, v47
	;; [unrolled: 1-line block ×3, first 2 shown]
	v_add_f16_e32 v53, v53, v7
	v_mul_f16_e32 v55, 0xb846, v55
	v_fma_f16 v57, v44, s8, v48
	v_sub_f16_e32 v7, v11, v7
	v_mul_f16_e32 v13, 0x2b26, v44
	v_fma_f16 v44, v9, s13, -v52
	v_mul_f16_e32 v9, 0xbb00, v9
	v_mul_f16_e32 v45, 0x3a52, v45
	v_fma_f16 v58, v33, s7, v52
	v_lshlrev_b32_e32 v227, 2, v5
	v_sub_f16_e32 v5, v47, v51
	v_sub_f16_e32 v46, v46, v49
	v_mul_f16_e32 v11, 0x2b26, v35
	v_fma_f16 v9, v33, s2, v9
	v_fma_f16 v33, v7, s13, -v55
	v_mul_f16_e32 v7, 0xbb00, v7
	v_fma_f16 v56, v35, s8, v45
	v_fma_f16 v11, v5, s9, -v11
	v_fma_f16 v5, v5, s3, -v45
	;; [unrolled: 1-line block ×4, first 2 shown]
	v_fma_f16 v7, v14, s2, v7
	v_add_f16_e32 v57, v57, v12
	v_add_f16_e32 v5, v5, v15
	;; [unrolled: 1-line block ×4, first 2 shown]
	v_fma_f16 v9, v50, s12, v9
	v_fma_f16 v7, v53, s12, v7
	v_add_f16_e32 v69, v68, v65
	v_sub_f16_e32 v70, v66, v67
	v_add_f16_e32 v56, v56, v15
	v_fma_f16 v59, v14, s7, v55
	v_add_f16_e32 v11, v11, v15
	v_fma_f16 v14, v50, s12, v44
	v_fma_f16 v15, v53, s12, v33
	v_add_f16_e32 v33, v7, v5
	v_sub_f16_e32 v35, v12, v9
	v_pack_b32_f16 v69, v69, v70
	v_fma_f16 v58, v50, s12, v58
	v_fma_f16 v59, v53, s12, v59
	v_pack_b32_f16 v33, v33, v35
	v_sub_f16_e32 v35, v11, v15
	v_add_f16_e32 v44, v14, v13
	v_add_f16_e32 v11, v15, v11
	v_sub_f16_e32 v13, v13, v14
	v_sub_f16_e32 v5, v5, v7
	v_add_f16_e32 v7, v9, v12
	ds_write2_b32 v171, v61, v69 offset1:7
	v_add_f16_e32 v60, v59, v56
	v_sub_f16_e32 v61, v57, v58
	v_pack_b32_f16 v9, v11, v13
	v_pack_b32_f16 v5, v5, v7
	;; [unrolled: 1-line block ×3, first 2 shown]
	ds_write2_b32 v227, v9, v5 offset0:28 offset1:35
	v_sub_f16_e32 v5, v56, v59
	v_add_f16_e32 v7, v58, v57
	v_accvgpr_write_b32 a52, v90
	ds_write2_b32 v227, v54, v60 offset1:7
	v_pack_b32_f16 v35, v35, v44
	v_pack_b32_f16 v5, v5, v7
	v_mad_u64_u32 v[60:61], s[14:15], v2, 24, s[10:11]
	v_accvgpr_write_b32 a53, v91
	ds_write2_b32 v227, v33, v35 offset0:14 offset1:21
	ds_write_b32 v227, v5 offset:168
	s_waitcnt lgkmcnt(0)
	; wave barrier
	s_waitcnt lgkmcnt(0)
	global_load_dwordx4 v[12:15], v[60:61], off offset:168
	global_load_dwordx2 v[90:91], v[60:61], off offset:184
	s_movk_i32 s14, 0x4f
	v_mul_lo_u16_sdwa v5, v6, s14 dst_sel:DWORD dst_unused:UNUSED_PAD src0_sel:BYTE_0 src1_sel:DWORD
	v_sub_u16_sdwa v7, v6, v5 dst_sel:DWORD dst_unused:UNUSED_PAD src0_sel:DWORD src1_sel:BYTE_1
	v_lshrrev_b16_e32 v7, 1, v7
	v_and_b32_e32 v7, 0x7f, v7
	v_add_u16_sdwa v5, v7, v5 dst_sel:DWORD dst_unused:UNUSED_PAD src0_sel:DWORD src1_sel:BYTE_1
	v_lshrrev_b16_e32 v5, 5, v5
	v_mul_lo_u16_e32 v5, 49, v5
	v_sub_u16_e32 v33, v6, v5
	v_mul_lo_u16_sdwa v5, v8, s14 dst_sel:DWORD dst_unused:UNUSED_PAD src0_sel:BYTE_0 src1_sel:DWORD
	v_sub_u16_sdwa v6, v8, v5 dst_sel:DWORD dst_unused:UNUSED_PAD src0_sel:DWORD src1_sel:BYTE_1
	v_lshrrev_b16_e32 v6, 1, v6
	v_and_b32_e32 v6, 0x7f, v6
	v_add_u16_sdwa v5, v6, v5 dst_sel:DWORD dst_unused:UNUSED_PAD src0_sel:DWORD src1_sel:BYTE_1
	v_lshrrev_b16_e32 v5, 5, v5
	v_mul_lo_u16_e32 v5, 49, v5
	v_sub_u16_e32 v35, v8, v5
	v_mul_lo_u16_sdwa v5, v10, s14 dst_sel:DWORD dst_unused:UNUSED_PAD src0_sel:BYTE_0 src1_sel:DWORD
	v_sub_u16_sdwa v6, v10, v5 dst_sel:DWORD dst_unused:UNUSED_PAD src0_sel:DWORD src1_sel:BYTE_1
	v_lshrrev_b16_e32 v6, 1, v6
	v_and_b32_e32 v6, 0x7f, v6
	v_add_u16_sdwa v5, v6, v5 dst_sel:DWORD dst_unused:UNUSED_PAD src0_sel:DWORD src1_sel:BYTE_1
	v_lshrrev_b16_e32 v5, 5, v5
	v_mul_lo_u16_e32 v5, 49, v5
	s_movk_i32 s14, 0x4e5f
	v_sub_u16_e32 v44, v10, v5
	v_mul_u32_u24_sdwa v5, v32, s14 dst_sel:DWORD dst_unused:UNUSED_PAD src0_sel:WORD_0 src1_sel:DWORD
	v_sub_u16_sdwa v6, v32, v5 dst_sel:DWORD dst_unused:UNUSED_PAD src0_sel:DWORD src1_sel:WORD_1
	v_lshrrev_b16_e32 v6, 1, v6
	v_add_u16_sdwa v5, v6, v5 dst_sel:DWORD dst_unused:UNUSED_PAD src0_sel:DWORD src1_sel:WORD_1
	v_lshrrev_b16_e32 v5, 5, v5
	v_mul_lo_u16_e32 v5, 49, v5
	v_sub_u16_e32 v136, v32, v5
	v_mul_u32_u24_sdwa v5, v34, s14 dst_sel:DWORD dst_unused:UNUSED_PAD src0_sel:WORD_0 src1_sel:DWORD
	v_sub_u16_sdwa v6, v34, v5 dst_sel:DWORD dst_unused:UNUSED_PAD src0_sel:DWORD src1_sel:WORD_1
	v_lshrrev_b16_e32 v8, 1, v6
	ds_read2_b32 v[6:7], v159 offset0:38 offset1:87
	ds_read2_b32 v[62:63], v209 offset0:10 offset1:59
	v_add_u16_sdwa v5, v8, v5 dst_sel:DWORD dst_unused:UNUSED_PAD src0_sel:DWORD src1_sel:WORD_1
	ds_read2_b32 v[64:65], v207 offset0:174 offset1:223
	v_lshrrev_b16_e32 v5, 5, v5
	s_waitcnt lgkmcnt(2)
	v_lshrrev_b32_e32 v8, 16, v7
	v_mul_lo_u16_e32 v5, 49, v5
	v_sub_u16_e32 v5, v34, v5
	ds_read2_b32 v[66:67], v163 offset0:92 offset1:141
	ds_read2_b32 v[68:69], v212 offset1:49
	v_and_b32_e32 v150, 0xff, v33
	v_and_b32_e32 v80, 0xff, v44
	;; [unrolled: 1-line block ×3, first 2 shown]
	v_mov_b32_e32 v33, v213
	v_mov_b32_e32 v35, v213
	v_accvgpr_write_b32 a54, v134
	v_accvgpr_write_b32 a55, v135
	v_lshlrev_b32_e32 v0, 2, v150
	v_add_u32_e32 v1, 0x800, v0
	v_accvgpr_write_b32 a35, v1
	v_accvgpr_write_b32 a51, v0
	s_waitcnt vmcnt(1)
	v_mul_f16_sdwa v9, v7, v12 dst_sel:DWORD dst_unused:UNUSED_PAD src0_sel:DWORD src1_sel:WORD_1
	v_fma_f16 v9, v8, v12, v9
	v_mul_f16_sdwa v8, v8, v12 dst_sel:DWORD dst_unused:UNUSED_PAD src0_sel:DWORD src1_sel:WORD_1
	v_fma_f16 v7, v7, v12, -v8
	s_waitcnt lgkmcnt(3)
	v_lshrrev_b32_e32 v8, 16, v62
	s_waitcnt vmcnt(0)
	v_mul_f16_sdwa v10, v62, v91 dst_sel:DWORD dst_unused:UNUSED_PAD src0_sel:DWORD src1_sel:WORD_1
	v_fma_f16 v10, v8, v91, v10
	v_mul_f16_sdwa v8, v8, v91 dst_sel:DWORD dst_unused:UNUSED_PAD src0_sel:DWORD src1_sel:WORD_1
	v_fma_f16 v8, v62, v91, -v8
	v_add_f16_e32 v62, v7, v8
	v_sub_f16_e32 v7, v7, v8
	v_add_f16_e32 v138, v9, v10
	v_sub_f16_e32 v137, v9, v10
	ds_read2_b32 v[8:9], v165 offset0:130 offset1:179
	s_waitcnt lgkmcnt(3)
	v_lshrrev_b32_e32 v10, 16, v64
	v_mul_f16_sdwa v11, v64, v13 dst_sel:DWORD dst_unused:UNUSED_PAD src0_sel:DWORD src1_sel:WORD_1
	v_fma_f16 v32, v10, v13, v11
	v_mul_f16_sdwa v10, v10, v13 dst_sel:DWORD dst_unused:UNUSED_PAD src0_sel:DWORD src1_sel:WORD_1
	v_fma_f16 v34, v64, v13, -v10
	s_waitcnt lgkmcnt(0)
	v_lshrrev_b32_e32 v10, 16, v9
	v_mul_f16_sdwa v11, v9, v90 dst_sel:DWORD dst_unused:UNUSED_PAD src0_sel:DWORD src1_sel:WORD_1
	v_fma_f16 v45, v10, v90, v11
	v_mul_f16_sdwa v10, v10, v90 dst_sel:DWORD dst_unused:UNUSED_PAD src0_sel:DWORD src1_sel:WORD_1
	v_fma_f16 v9, v9, v90, -v10
	ds_read2_b32 v[10:11], v166 offset0:84 offset1:133
	v_add_f16_e32 v139, v34, v9
	v_sub_f16_e32 v64, v34, v9
	v_add_f16_e32 v141, v32, v45
	v_sub_f16_e32 v140, v32, v45
	s_waitcnt lgkmcnt(0)
	v_lshrrev_b32_e32 v9, 16, v11
	v_mul_f16_sdwa v32, v11, v14 dst_sel:DWORD dst_unused:UNUSED_PAD src0_sel:DWORD src1_sel:WORD_1
	v_fma_f16 v32, v9, v14, v32
	v_mul_f16_sdwa v9, v9, v14 dst_sel:DWORD dst_unused:UNUSED_PAD src0_sel:DWORD src1_sel:WORD_1
	v_fma_f16 v9, v11, v14, -v9
	v_lshrrev_b32_e32 v11, 16, v66
	v_mul_f16_sdwa v34, v66, v15 dst_sel:DWORD dst_unused:UNUSED_PAD src0_sel:DWORD src1_sel:WORD_1
	v_fma_f16 v34, v11, v15, v34
	v_mul_f16_sdwa v11, v11, v15 dst_sel:DWORD dst_unused:UNUSED_PAD src0_sel:DWORD src1_sel:WORD_1
	v_fma_f16 v11, v66, v15, -v11
	v_add_f16_e32 v45, v9, v11
	v_sub_f16_e32 v9, v11, v9
	v_add_f16_e32 v11, v32, v34
	v_sub_f16_e32 v32, v34, v32
	v_add_f16_e32 v34, v139, v62
	v_add_f16_e32 v34, v45, v34
	v_add_f16_e32 v46, v141, v138
	v_add_f16_e32 v46, v11, v46
	v_add_f16_e32 v47, v34, v68
	v_add_f16_sdwa v48, v46, v68 dst_sel:DWORD dst_unused:UNUSED_PAD src0_sel:DWORD src1_sel:WORD_1
	v_fma_f16 v142, v34, s6, v47
	v_sub_f16_e32 v34, v62, v45
	v_fma_f16 v68, v46, s6, v48
	v_sub_f16_e32 v148, v45, v139
	v_sub_f16_e32 v45, v138, v11
	;; [unrolled: 1-line block ×3, first 2 shown]
	v_add_f16_e32 v11, v9, v64
	v_sub_f16_e32 v46, v9, v64
	v_sub_f16_e32 v219, v7, v9
	v_add_f16_e32 v9, v32, v140
	v_mul_f16_e32 v232, 0x3a52, v34
	v_lshlrev_b32_e32 v49, 16, v48
	v_add_f16_e32 v145, v9, v137
	v_mul_f16_e32 v230, 0x3a52, v45
	v_fma_f16 v9, v148, s8, v232
	v_or_b32_e32 v147, v49, v47
	v_sub_f16_e32 v47, v32, v140
	v_add_f16_e32 v146, v11, v7
	v_mul_f16_e32 v231, 0xb846, v46
	v_add_f16_e32 v11, v9, v142
	v_fma_f16 v9, v226, s8, v230
	v_sub_f16_e32 v222, v137, v32
	v_mul_f16_e32 v149, 0xb846, v47
	v_add_f16_e32 v66, v9, v68
	v_fma_f16 v9, v219, s7, v231
	v_fma_f16 v143, v146, s12, v9
	;; [unrolled: 1-line block ×4, first 2 shown]
	v_add_f16_e32 v9, v144, v11
	v_sub_f16_e32 v32, v66, v143
	v_mad_u64_u32 v[44:45], s[14:15], v150, 24, s[10:11]
	v_pack_b32_f16 v81, v9, v32
	ds_read_b32 v9, v212 offset:9408
	global_load_dwordx2 v[120:121], v[44:45], off offset:184
	global_load_dwordx4 v[56:59], v[44:45], off offset:168
	v_mad_u64_u32 v[44:45], s[14:15], v151, 24, s[10:11]
	global_load_dwordx2 v[118:119], v[44:45], off offset:184
	global_load_dwordx4 v[52:55], v[44:45], off offset:168
	v_mul_lo_u16_e32 v32, 24, v136
	v_mul_lo_u16_e32 v34, 24, v5
	v_lshl_add_u64 v[32:33], s[10:11], 0, v[32:33]
	v_lshl_add_u64 v[34:35], s[10:11], 0, v[34:35]
	v_mad_u64_u32 v[44:45], s[14:15], v80, 24, s[10:11]
	v_sub_f16_e32 v7, v64, v7
	v_sub_f16_e32 v64, v140, v137
	global_load_dwordx2 v[116:117], v[44:45], off offset:184
	global_load_dwordx4 v[48:51], v[44:45], off offset:168
	global_load_dwordx2 v[114:115], v[32:33], off offset:184
	s_nop 0
	global_load_dwordx4 v[44:47], v[32:33], off offset:168
	global_load_dwordx2 v[112:113], v[34:35], off offset:184
	s_nop 0
	global_load_dwordx4 v[32:35], v[34:35], off offset:168
	ds_read2_b32 v[82:83], v159 offset0:136 offset1:185
	ds_read2_b32 v[84:85], v175 offset0:54 offset1:103
	;; [unrolled: 1-line block ×17, first 2 shown]
	s_waitcnt lgkmcnt(0)
	; wave barrier
	s_waitcnt lgkmcnt(0)
	ds_write2_b32 v212, v147, v81 offset1:49
	v_sub_f16_e32 v62, v139, v62
	v_sub_f16_e32 v81, v141, v138
	v_mul_f16_e32 v137, 0x2b26, v148
	v_mul_f16_e32 v138, 0x2b26, v226
	v_fma_f16 v139, v7, s13, -v231
	v_mul_f16_e32 v7, 0xbb00, v7
	v_fma_f16 v140, v64, s13, -v149
	;; [unrolled: 2-line block ×3, first 2 shown]
	v_fma_f16 v62, v62, s3, -v232
	v_fma_f16 v138, v81, s9, -v138
	v_fma_f16 v81, v81, s3, -v230
	v_fma_f16 v7, v219, s2, v7
	v_fma_f16 v64, v222, s2, v64
	v_add_f16_e32 v62, v62, v142
	v_add_f16_e32 v138, v138, v68
	;; [unrolled: 1-line block ×3, first 2 shown]
	v_fma_f16 v7, v146, s12, v7
	v_fma_f16 v64, v145, s12, v64
	v_add_f16_e32 v137, v137, v142
	v_fma_f16 v81, v146, s12, v139
	v_fma_f16 v139, v145, s12, v140
	v_add_f16_e32 v140, v64, v62
	v_sub_f16_e32 v141, v68, v7
	v_pack_b32_f16 v140, v140, v141
	v_sub_f16_e32 v141, v137, v139
	v_add_f16_e32 v142, v81, v138
	v_add_f16_e32 v137, v139, v137
	v_sub_f16_e32 v81, v138, v81
	v_sub_f16_e32 v62, v62, v64
	v_add_f16_e32 v7, v7, v68
	v_pack_b32_f16 v64, v137, v81
	v_pack_b32_f16 v7, v62, v7
	ds_write2_b32 v212, v64, v7 offset0:196 offset1:245
	v_lshrrev_b32_e32 v7, 16, v65
	v_mul_f16_sdwa v64, v65, v13 dst_sel:DWORD dst_unused:UNUSED_PAD src0_sel:DWORD src1_sel:WORD_1
	v_mul_f16_sdwa v62, v7, v13 dst_sel:DWORD dst_unused:UNUSED_PAD src0_sel:DWORD src1_sel:WORD_1
	v_fma_f16 v7, v7, v13, v64
	v_lshrrev_b32_e32 v64, 16, v67
	v_fma_f16 v62, v65, v13, -v62
	v_mul_f16_sdwa v65, v64, v15 dst_sel:DWORD dst_unused:UNUSED_PAD src0_sel:DWORD src1_sel:WORD_1
	v_fma_f16 v65, v67, v15, -v65
	v_mul_f16_sdwa v67, v67, v15 dst_sel:DWORD dst_unused:UNUSED_PAD src0_sel:DWORD src1_sel:WORD_1
	v_fma_f16 v64, v64, v15, v67
	v_lshrrev_b32_e32 v67, 16, v63
	v_mul_f16_sdwa v68, v67, v91 dst_sel:DWORD dst_unused:UNUSED_PAD src0_sel:DWORD src1_sel:WORD_1
	v_fma_f16 v68, v63, v91, -v68
	v_mul_f16_sdwa v63, v63, v91 dst_sel:DWORD dst_unused:UNUSED_PAD src0_sel:DWORD src1_sel:WORD_1
	v_fma_f16 v63, v67, v91, v63
	v_lshrrev_b32_e32 v67, 16, v82
	v_mul_f16_sdwa v81, v82, v12 dst_sel:DWORD dst_unused:UNUSED_PAD src0_sel:DWORD src1_sel:WORD_1
	v_fma_f16 v81, v67, v12, v81
	v_mul_f16_sdwa v67, v67, v12 dst_sel:DWORD dst_unused:UNUSED_PAD src0_sel:DWORD src1_sel:WORD_1
	v_fma_f16 v67, v82, v12, -v67
	v_lshrrev_b32_e32 v82, 16, v84
	v_mul_f16_sdwa v137, v84, v14 dst_sel:DWORD dst_unused:UNUSED_PAD src0_sel:DWORD src1_sel:WORD_1
	v_fma_f16 v137, v82, v14, v137
	v_mul_f16_sdwa v82, v82, v14 dst_sel:DWORD dst_unused:UNUSED_PAD src0_sel:DWORD src1_sel:WORD_1
	v_fma_f16 v82, v84, v14, -v82
	;; [unrolled: 5-line block ×3, first 2 shown]
	v_pack_b32_f16 v141, v141, v142
	v_add_f16_e32 v66, v143, v66
	v_add_f16_e32 v86, v67, v68
	;; [unrolled: 1-line block ×5, first 2 shown]
	ds_write2_b32 v212, v140, v141 offset0:98 offset1:147
	v_sub_f16_e32 v11, v11, v144
	v_add_f16_e32 v140, v82, v65
	v_add_f16_e32 v141, v139, v86
	v_add_f16_e32 v144, v137, v64
	v_add_f16_e32 v145, v143, v142
	v_add_f16_e32 v141, v140, v141
	v_add_f16_e32 v145, v144, v145
	v_add_f16_e32 v146, v141, v69
	v_add_f16_sdwa v69, v145, v69 dst_sel:DWORD dst_unused:UNUSED_PAD src0_sel:DWORD src1_sel:WORD_1
	v_pack_b32_f16 v11, v11, v66
	v_lshlrev_b32_e32 v66, 16, v69
	v_or_b32_e32 v66, v66, v146
	v_sub_f16_e32 v62, v62, v84
	v_sub_f16_e32 v65, v65, v82
	ds_write2_b32 v159, v11, v66 offset0:38 offset1:87
	v_sub_f16_e32 v11, v67, v68
	v_sub_f16_e32 v7, v7, v138
	;; [unrolled: 1-line block ×5, first 2 shown]
	v_add_f16_e32 v86, v65, v62
	v_sub_f16_e32 v63, v81, v63
	v_sub_f16_e32 v68, v140, v139
	;; [unrolled: 1-line block ×5, first 2 shown]
	v_add_f16_e32 v11, v86, v11
	v_add_f16_e32 v86, v64, v7
	v_mul_f16_e32 v67, 0x3a52, v67
	v_sub_f16_e32 v84, v144, v143
	v_sub_f16_e32 v138, v64, v7
	;; [unrolled: 1-line block ×4, first 2 shown]
	v_add_f16_e32 v63, v86, v63
	v_fma_f16 v86, v141, s6, v146
	v_fma_f16 v141, v68, s8, v67
	v_mul_f16_e32 v68, 0x2b26, v68
	v_sub_f16_e32 v81, v143, v142
	v_mul_f16_e32 v137, 0xb846, v137
	v_mul_f16_e32 v138, 0xb846, v138
	;; [unrolled: 1-line block ×3, first 2 shown]
	v_fma_f16 v67, v66, s3, -v67
	v_fma_f16 v66, v66, s9, -v68
	v_mul_f16_e32 v68, 0x2b26, v84
	v_sub_f16_e32 v82, v142, v144
	v_fma_f16 v69, v145, s6, v69
	v_fma_f16 v139, v65, s2, v139
	;; [unrolled: 1-line block ×3, first 2 shown]
	v_mul_f16_e32 v140, 0xbb00, v7
	v_fma_f16 v68, v81, s9, -v68
	v_fma_f16 v62, v62, s13, -v137
	v_fma_f16 v7, v7, s13, -v138
	v_mul_f16_e32 v82, 0x3a52, v82
	v_fma_f16 v140, v64, s2, v140
	v_fma_f16 v64, v64, s7, v138
	;; [unrolled: 1-line block ×4, first 2 shown]
	v_add_f16_e32 v66, v66, v86
	v_add_f16_e32 v68, v68, v69
	v_fma_f16 v11, v11, s12, v62
	v_fma_f16 v7, v63, s12, v7
	;; [unrolled: 1-line block ×4, first 2 shown]
	v_fma_f16 v82, v81, s3, -v82
	v_fma_f16 v140, v63, s12, v140
	v_sub_f16_e32 v62, v66, v7
	v_add_f16_e32 v7, v7, v66
	v_add_f16_e32 v63, v11, v68
	v_sub_f16_e32 v11, v68, v11
	v_add_f16_e32 v141, v141, v86
	v_add_f16_e32 v142, v142, v69
	;; [unrolled: 1-line block ×4, first 2 shown]
	v_pack_b32_f16 v62, v62, v63
	v_pack_b32_f16 v7, v7, v11
	ds_write2_b32 v173, v62, v7 offset0:106 offset1:155
	v_sub_f16_e32 v7, v67, v140
	v_add_f16_e32 v11, v139, v82
	v_sub_f16_e32 v62, v141, v64
	v_add_f16_e32 v63, v65, v142
	v_pack_b32_f16 v7, v7, v11
	v_pack_b32_f16 v11, v62, v63
	ds_write2_b32 v207, v7, v11 offset0:76 offset1:125
	v_lshrrev_b32_e32 v7, 16, v83
	s_waitcnt vmcnt(8)
	v_mul_f16_sdwa v62, v83, v56 dst_sel:DWORD dst_unused:UNUSED_PAD src0_sel:DWORD src1_sel:WORD_1
	v_add_f16_e32 v143, v64, v141
	v_mul_f16_sdwa v11, v7, v56 dst_sel:DWORD dst_unused:UNUSED_PAD src0_sel:DWORD src1_sel:WORD_1
	v_fma_f16 v7, v7, v56, v62
	v_lshrrev_b32_e32 v62, 16, v85
	v_mul_f16_sdwa v64, v85, v58 dst_sel:DWORD dst_unused:UNUSED_PAD src0_sel:DWORD src1_sel:WORD_1
	v_sub_f16_e32 v144, v142, v65
	v_mul_f16_sdwa v63, v62, v58 dst_sel:DWORD dst_unused:UNUSED_PAD src0_sel:DWORD src1_sel:WORD_1
	v_fma_f16 v62, v62, v58, v64
	v_lshrrev_b32_e32 v64, 16, v87
	v_mul_f16_sdwa v66, v87, v120 dst_sel:DWORD dst_unused:UNUSED_PAD src0_sel:DWORD src1_sel:WORD_1
	v_pack_b32_f16 v143, v143, v144
	v_add_f16_e32 v144, v140, v67
	v_mul_f16_sdwa v65, v64, v120 dst_sel:DWORD dst_unused:UNUSED_PAD src0_sel:DWORD src1_sel:WORD_1
	v_fma_f16 v64, v64, v120, v66
	v_lshrrev_b32_e32 v66, 16, v130
	v_mul_f16_sdwa v67, v130, v121 dst_sel:DWORD dst_unused:UNUSED_PAD src0_sel:DWORD src1_sel:WORD_1
	v_fma_f16 v67, v66, v121, v67
	v_mul_f16_sdwa v66, v66, v121 dst_sel:DWORD dst_unused:UNUSED_PAD src0_sel:DWORD src1_sel:WORD_1
	v_fma_f16 v11, v83, v56, -v11
	v_fma_f16 v66, v130, v121, -v66
	v_add_f16_e32 v68, v11, v66
	v_sub_f16_e32 v66, v11, v66
	v_add_f16_e32 v69, v7, v67
	v_sub_f16_e32 v67, v7, v67
	v_lshrrev_b32_e32 v7, 16, v134
	v_mul_f16_sdwa v11, v134, v57 dst_sel:DWORD dst_unused:UNUSED_PAD src0_sel:DWORD src1_sel:WORD_1
	v_fma_f16 v11, v7, v57, v11
	v_mul_f16_sdwa v7, v7, v57 dst_sel:DWORD dst_unused:UNUSED_PAD src0_sel:DWORD src1_sel:WORD_1
	v_fma_f16 v65, v87, v120, -v65
	v_fma_f16 v7, v134, v57, -v7
	v_sub_f16_e32 v145, v82, v139
	v_add_f16_e32 v81, v7, v65
	v_sub_f16_e32 v65, v7, v65
	v_add_f16_e32 v82, v11, v64
	v_sub_f16_e32 v64, v11, v64
	v_lshrrev_b32_e32 v7, 16, v132
	v_mul_f16_sdwa v11, v132, v59 dst_sel:DWORD dst_unused:UNUSED_PAD src0_sel:DWORD src1_sel:WORD_1
	v_fma_f16 v11, v7, v59, v11
	v_mul_f16_sdwa v7, v7, v59 dst_sel:DWORD dst_unused:UNUSED_PAD src0_sel:DWORD src1_sel:WORD_1
	v_fma_f16 v63, v85, v58, -v63
	v_fma_f16 v7, v132, v59, -v7
	v_add_f16_e32 v83, v63, v7
	v_sub_f16_e32 v7, v7, v63
	v_add_f16_e32 v63, v62, v11
	v_add_f16_e32 v84, v82, v69
	v_sub_f16_e32 v11, v11, v62
	v_add_f16_e32 v62, v81, v68
	v_add_f16_e32 v84, v63, v84
	;; [unrolled: 1-line block ×3, first 2 shown]
	v_add_f16_sdwa v86, v84, v128 dst_sel:DWORD dst_unused:UNUSED_PAD src0_sel:DWORD src1_sel:WORD_1
	v_add_f16_e32 v85, v62, v128
	v_lshlrev_b32_e32 v87, 16, v86
	v_or_b32_e32 v87, v87, v85
	v_fma_f16 v85, v62, s6, v85
	v_fma_f16 v84, v84, s6, v86
	v_sub_f16_e32 v62, v68, v83
	v_sub_f16_e32 v83, v83, v81
	;; [unrolled: 1-line block ×4, first 2 shown]
	v_add_f16_e32 v63, v7, v65
	v_sub_f16_e32 v130, v7, v65
	v_sub_f16_e32 v134, v11, v64
	v_sub_f16_e32 v132, v66, v7
	v_add_f16_e32 v7, v11, v64
	v_add_f16_e32 v138, v63, v66
	v_mul_f16_e32 v140, 0x3a52, v62
	v_mul_f16_e32 v130, 0xb846, v130
	;; [unrolled: 1-line block ×3, first 2 shown]
	v_sub_f16_e32 v68, v81, v68
	v_sub_f16_e32 v65, v65, v66
	;; [unrolled: 1-line block ×3, first 2 shown]
	v_mul_f16_e32 v66, 0x2b26, v83
	v_sub_f16_e32 v137, v67, v11
	v_add_f16_e32 v139, v7, v67
	v_mul_f16_e32 v86, 0x3a52, v86
	v_sub_f16_e32 v69, v82, v69
	v_fma_f16 v66, v68, s9, -v66
	v_fma_f16 v67, v68, s3, -v140
	v_mul_f16_e32 v68, 0x2b26, v128
	v_fma_f16 v81, v65, s13, -v130
	v_mul_f16_e32 v65, 0xbb00, v65
	v_fma_f16 v82, v64, s13, -v134
	v_mul_f16_e32 v64, 0xbb00, v64
	v_fma_f16 v7, v83, s8, v140
	v_fma_f16 v11, v128, s8, v86
	;; [unrolled: 1-line block ×4, first 2 shown]
	v_fma_f16 v68, v69, s9, -v68
	v_fma_f16 v69, v69, s3, -v86
	v_fma_f16 v65, v132, s2, v65
	v_fma_f16 v64, v137, s2, v64
	v_add_f16_e32 v7, v7, v85
	v_add_f16_e32 v11, v11, v84
	v_fma_f16 v62, v138, s12, v62
	v_fma_f16 v63, v139, s12, v63
	v_add_f16_e32 v67, v67, v85
	v_add_f16_e32 v69, v69, v84
	v_fma_f16 v65, v138, s12, v65
	v_fma_f16 v64, v139, s12, v64
	v_add_f16_e32 v141, v63, v7
	v_sub_f16_e32 v142, v11, v62
	v_add_f16_e32 v66, v66, v85
	v_add_f16_e32 v68, v68, v84
	v_fma_f16 v81, v138, s12, v81
	v_fma_f16 v82, v139, s12, v82
	v_add_f16_e32 v83, v64, v67
	v_sub_f16_e32 v84, v69, v65
	v_pack_b32_f16 v144, v144, v145
	v_pack_b32_f16 v141, v141, v142
	;; [unrolled: 1-line block ×3, first 2 shown]
	v_sub_f16_e32 v84, v66, v82
	v_add_f16_e32 v85, v81, v68
	v_add_f16_e32 v66, v82, v66
	v_sub_f16_e32 v68, v68, v81
	v_sub_f16_e32 v64, v67, v64
	v_add_f16_e32 v65, v65, v69
	ds_write2_b32 v159, v143, v144 offset0:136 offset1:185
	ds_write2_b32 v1, v87, v141 offset0:174 offset1:223
	v_add_u32_e32 v1, 0xc00, v0
	v_pack_b32_f16 v66, v66, v68
	v_pack_b32_f16 v64, v64, v65
	ds_write2_b32 v1, v66, v64 offset0:114 offset1:163
	v_lshrrev_b32_e32 v64, 16, v135
	s_waitcnt vmcnt(6)
	v_mul_f16_sdwa v66, v135, v53 dst_sel:DWORD dst_unused:UNUSED_PAD src0_sel:DWORD src1_sel:WORD_1
	v_mul_f16_sdwa v65, v64, v53 dst_sel:DWORD dst_unused:UNUSED_PAD src0_sel:DWORD src1_sel:WORD_1
	v_fma_f16 v64, v64, v53, v66
	v_lshrrev_b32_e32 v66, 16, v133
	v_mul_f16_sdwa v68, v133, v55 dst_sel:DWORD dst_unused:UNUSED_PAD src0_sel:DWORD src1_sel:WORD_1
	v_mul_f16_sdwa v67, v66, v55 dst_sel:DWORD dst_unused:UNUSED_PAD src0_sel:DWORD src1_sel:WORD_1
	v_fma_f16 v66, v66, v55, v68
	v_lshrrev_b32_e32 v68, 16, v131
	;; [unrolled: 4-line block ×3, first 2 shown]
	v_mul_f16_sdwa v82, v126, v52 dst_sel:DWORD dst_unused:UNUSED_PAD src0_sel:DWORD src1_sel:WORD_1
	v_fma_f16 v82, v81, v52, v82
	v_mul_f16_sdwa v81, v81, v52 dst_sel:DWORD dst_unused:UNUSED_PAD src0_sel:DWORD src1_sel:WORD_1
	v_pack_b32_f16 v84, v84, v85
	v_fma_f16 v69, v131, v119, -v69
	v_fma_f16 v81, v126, v52, -v81
	ds_write2_b32 v1, v83, v84 offset0:16 offset1:65
	v_add_f16_e32 v83, v81, v69
	v_sub_f16_e32 v69, v81, v69
	v_add_f16_e32 v81, v82, v68
	v_sub_f16_e32 v68, v82, v68
	v_lshrrev_b32_e32 v82, 16, v122
	v_mul_f16_sdwa v84, v122, v118 dst_sel:DWORD dst_unused:UNUSED_PAD src0_sel:DWORD src1_sel:WORD_1
	v_fma_f16 v84, v82, v118, v84
	v_mul_f16_sdwa v82, v82, v118 dst_sel:DWORD dst_unused:UNUSED_PAD src0_sel:DWORD src1_sel:WORD_1
	v_fma_f16 v65, v135, v53, -v65
	v_fma_f16 v82, v122, v118, -v82
	v_add_f16_e32 v85, v65, v82
	v_sub_f16_e32 v65, v65, v82
	v_add_f16_e32 v82, v64, v84
	v_sub_f16_e32 v64, v64, v84
	v_lshrrev_b32_e32 v84, 16, v124
	v_mul_f16_sdwa v86, v124, v54 dst_sel:DWORD dst_unused:UNUSED_PAD src0_sel:DWORD src1_sel:WORD_1
	v_fma_f16 v86, v84, v54, v86
	v_mul_f16_sdwa v84, v84, v54 dst_sel:DWORD dst_unused:UNUSED_PAD src0_sel:DWORD src1_sel:WORD_1
	v_fma_f16 v67, v133, v55, -v67
	v_fma_f16 v84, v124, v54, -v84
	v_add_f16_e32 v87, v84, v67
	v_sub_f16_e32 v67, v67, v84
	v_add_f16_e32 v84, v86, v66
	v_add_f16_e32 v122, v82, v81
	v_sub_f16_e32 v66, v66, v86
	v_add_f16_e32 v86, v85, v83
	v_add_f16_e32 v122, v84, v122
	;; [unrolled: 1-line block ×3, first 2 shown]
	v_add_f16_sdwa v126, v122, v129 dst_sel:DWORD dst_unused:UNUSED_PAD src0_sel:DWORD src1_sel:WORD_1
	v_add_f16_e32 v124, v86, v129
	v_lshlrev_b32_e32 v128, 16, v126
	v_or_b32_e32 v128, v128, v124
	v_fma_f16 v86, v86, s6, v124
	v_sub_f16_e32 v124, v83, v87
	v_sub_f16_e32 v87, v87, v85
	;; [unrolled: 1-line block ×3, first 2 shown]
	v_add_f16_e32 v131, v66, v64
	v_add_f16_e32 v129, v67, v65
	v_sub_f16_e32 v132, v66, v64
	v_sub_f16_e32 v66, v68, v66
	v_add_f16_e32 v131, v131, v68
	v_mul_f16_e32 v124, 0x3a52, v124
	v_mul_f16_e32 v130, 0xb846, v130
	v_sub_f16_e32 v83, v85, v83
	v_sub_f16_e32 v65, v65, v69
	;; [unrolled: 1-line block ×3, first 2 shown]
	v_mul_f16_e32 v68, 0x2b26, v87
	v_fma_f16 v122, v122, s6, v126
	v_sub_f16_e32 v126, v81, v84
	v_sub_f16_e32 v84, v84, v82
	;; [unrolled: 1-line block ×3, first 2 shown]
	v_add_f16_e32 v129, v129, v69
	v_mul_f16_e32 v132, 0xb846, v132
	v_fma_f16 v68, v83, s9, -v68
	v_fma_f16 v69, v83, s3, -v124
	;; [unrolled: 1-line block ×3, first 2 shown]
	v_mul_f16_e32 v65, 0xbb00, v65
	v_mul_f16_e32 v126, 0x3a52, v126
	v_fma_f16 v135, v67, s7, v130
	v_sub_f16_e32 v81, v82, v81
	v_mul_f16_e32 v82, 0x2b26, v84
	v_fma_f16 v65, v67, s2, v65
	v_fma_f16 v67, v64, s13, -v132
	v_mul_f16_e32 v64, 0xbb00, v64
	v_fma_f16 v82, v81, s9, -v82
	v_fma_f16 v81, v81, s3, -v126
	v_fma_f16 v64, v66, s2, v64
	v_fma_f16 v137, v66, s7, v132
	v_add_f16_e32 v66, v68, v86
	v_add_f16_e32 v68, v69, v86
	;; [unrolled: 1-line block ×3, first 2 shown]
	v_fma_f16 v65, v129, s12, v65
	v_fma_f16 v64, v131, s12, v64
	;; [unrolled: 1-line block ×3, first 2 shown]
	v_add_f16_e32 v69, v82, v122
	v_fma_f16 v82, v129, s12, v83
	v_fma_f16 v67, v131, s12, v67
	v_add_f16_e32 v83, v64, v68
	v_sub_f16_e32 v84, v81, v65
	v_accvgpr_write_b32 a37, v1
	v_lshlrev_b32_e32 v1, 2, v151
	v_pack_b32_f16 v83, v83, v84
	v_sub_f16_e32 v84, v66, v67
	v_add_f16_e32 v66, v67, v66
	v_sub_f16_e32 v67, v69, v82
	v_sub_f16_e32 v64, v68, v64
	v_add_f16_e32 v65, v65, v81
	v_add_u32_e32 v2, 0x1000, v1
	v_pack_b32_f16 v66, v66, v67
	v_pack_b32_f16 v64, v64, v65
	ds_write2_b32 v2, v66, v64 offset0:201 offset1:250
	v_lshrrev_b32_e32 v64, 16, v127
	s_waitcnt vmcnt(4)
	v_mul_f16_sdwa v66, v127, v48 dst_sel:DWORD dst_unused:UNUSED_PAD src0_sel:DWORD src1_sel:WORD_1
	v_mul_f16_sdwa v65, v64, v48 dst_sel:DWORD dst_unused:UNUSED_PAD src0_sel:DWORD src1_sel:WORD_1
	v_fma_f16 v64, v64, v48, v66
	v_lshrrev_b32_e32 v66, 16, v125
	v_mul_f16_sdwa v68, v125, v50 dst_sel:DWORD dst_unused:UNUSED_PAD src0_sel:DWORD src1_sel:WORD_1
	v_mul_f16_sdwa v67, v66, v50 dst_sel:DWORD dst_unused:UNUSED_PAD src0_sel:DWORD src1_sel:WORD_1
	v_fma_f16 v66, v66, v50, v68
	v_lshrrev_b32_e32 v68, 16, v123
	v_mul_f16_sdwa v81, v123, v116 dst_sel:DWORD dst_unused:UNUSED_PAD src0_sel:DWORD src1_sel:WORD_1
	v_add_f16_e32 v85, v82, v69
	v_mul_f16_sdwa v69, v68, v116 dst_sel:DWORD dst_unused:UNUSED_PAD src0_sel:DWORD src1_sel:WORD_1
	v_fma_f16 v68, v68, v116, v81
	v_lshrrev_b32_e32 v81, 16, v78
	v_mul_f16_sdwa v82, v78, v117 dst_sel:DWORD dst_unused:UNUSED_PAD src0_sel:DWORD src1_sel:WORD_1
	v_fma_f16 v82, v81, v117, v82
	v_mul_f16_sdwa v81, v81, v117 dst_sel:DWORD dst_unused:UNUSED_PAD src0_sel:DWORD src1_sel:WORD_1
	v_pack_b32_f16 v84, v84, v85
	v_fma_f16 v65, v127, v48, -v65
	v_fma_f16 v78, v78, v117, -v81
	ds_write2_b32 v2, v83, v84 offset0:103 offset1:152
	v_add_f16_e32 v81, v65, v78
	v_sub_f16_e32 v65, v65, v78
	v_add_f16_e32 v78, v64, v82
	v_sub_f16_e32 v64, v64, v82
	v_lshrrev_b32_e32 v82, 16, v94
	v_mul_f16_sdwa v83, v94, v49 dst_sel:DWORD dst_unused:UNUSED_PAD src0_sel:DWORD src1_sel:WORD_1
	v_fma_f16 v83, v82, v49, v83
	v_mul_f16_sdwa v82, v82, v49 dst_sel:DWORD dst_unused:UNUSED_PAD src0_sel:DWORD src1_sel:WORD_1
	v_fma_f16 v69, v123, v116, -v69
	v_fma_f16 v82, v94, v49, -v82
	v_add_f16_e32 v84, v82, v69
	v_sub_f16_e32 v69, v82, v69
	v_add_f16_e32 v82, v83, v68
	v_sub_f16_e32 v68, v83, v68
	v_lshrrev_b32_e32 v83, 16, v92
	v_mul_f16_sdwa v85, v92, v51 dst_sel:DWORD dst_unused:UNUSED_PAD src0_sel:DWORD src1_sel:WORD_1
	v_fma_f16 v85, v83, v51, v85
	v_mul_f16_sdwa v83, v83, v51 dst_sel:DWORD dst_unused:UNUSED_PAD src0_sel:DWORD src1_sel:WORD_1
	v_fma_f16 v133, v87, s8, v124
	v_fma_f16 v67, v125, v50, -v67
	v_fma_f16 v83, v92, v51, -v83
	v_add_f16_e32 v133, v133, v86
	v_add_f16_e32 v86, v67, v83
	v_sub_f16_e32 v67, v83, v67
	v_add_f16_e32 v83, v66, v85
	v_sub_f16_e32 v66, v85, v66
	v_add_f16_e32 v85, v84, v81
	v_add_f16_e32 v87, v82, v78
	v_add_f16_e32 v134, v134, v122
	v_fma_f16 v135, v129, s12, v135
	v_fma_f16 v137, v131, s12, v137
	v_add_f16_e32 v85, v86, v85
	v_add_f16_e32 v87, v83, v87
	v_add_f16_e32 v138, v137, v133
	v_sub_f16_e32 v139, v134, v135
	v_add_f16_e32 v92, v85, v76
	v_add_f16_sdwa v76, v87, v76 dst_sel:DWORD dst_unused:UNUSED_PAD src0_sel:DWORD src1_sel:WORD_1
	v_add_f16_e32 v122, v67, v69
	v_sub_f16_e32 v123, v67, v69
	v_pack_b32_f16 v138, v138, v139
	v_lshlrev_b32_e32 v94, 16, v76
	v_fma_f16 v76, v87, s6, v76
	v_sub_f16_e32 v87, v81, v86
	v_sub_f16_e32 v86, v86, v84
	;; [unrolled: 1-line block ×3, first 2 shown]
	v_add_f16_e32 v124, v66, v68
	v_sub_f16_e32 v125, v66, v68
	v_add_f16_e32 v122, v122, v65
	v_mul_f16_e32 v123, 0xb846, v123
	v_sub_f16_e32 v65, v69, v65
	ds_write2_b32 v2, v128, v138 offset0:5 offset1:54
	v_accvgpr_write_b32 a39, v2
	v_or_b32_e32 v94, v94, v92
	v_fma_f16 v85, v85, s6, v92
	v_sub_f16_e32 v92, v78, v83
	v_sub_f16_e32 v83, v83, v82
	;; [unrolled: 1-line block ×3, first 2 shown]
	v_add_f16_e32 v124, v124, v64
	v_mul_f16_e32 v87, 0x3a52, v87
	v_mul_f16_e32 v125, 0xb846, v125
	v_lshlrev_b32_e32 v2, 2, v80
	v_sub_f16_e32 v80, v84, v81
	v_sub_f16_e32 v64, v68, v64
	v_mul_f16_e32 v68, 0x2b26, v86
	v_fma_f16 v81, v65, s13, -v123
	v_mul_f16_e32 v65, 0xbb00, v65
	v_mul_f16_e32 v92, 0x3a52, v92
	v_fma_f16 v128, v67, s7, v123
	v_sub_f16_e32 v78, v82, v78
	v_fma_f16 v68, v80, s9, -v68
	v_fma_f16 v69, v80, s3, -v87
	v_mul_f16_e32 v80, 0x2b26, v83
	v_fma_f16 v65, v67, s2, v65
	v_fma_f16 v67, v64, s13, -v125
	v_mul_f16_e32 v64, 0xbb00, v64
	v_fma_f16 v127, v83, s8, v92
	v_fma_f16 v80, v78, s9, -v80
	v_fma_f16 v78, v78, s3, -v92
	v_fma_f16 v64, v66, s2, v64
	v_fma_f16 v126, v86, s8, v87
	v_add_f16_e32 v127, v127, v76
	v_fma_f16 v129, v66, s7, v125
	v_add_f16_e32 v66, v68, v85
	v_add_f16_e32 v68, v69, v85
	;; [unrolled: 1-line block ×4, first 2 shown]
	v_fma_f16 v65, v122, s12, v65
	v_fma_f16 v64, v124, s12, v64
	v_add_f16_e32 v126, v126, v85
	v_fma_f16 v128, v122, s12, v128
	v_fma_f16 v129, v124, s12, v129
	v_fma_f16 v78, v122, s12, v81
	v_fma_f16 v67, v124, s12, v67
	v_add_f16_e32 v80, v64, v68
	v_sub_f16_e32 v81, v76, v65
	v_add_f16_e32 v130, v129, v126
	v_sub_f16_e32 v131, v127, v128
	v_pack_b32_f16 v80, v80, v81
	v_sub_f16_e32 v81, v66, v67
	v_add_f16_e32 v82, v78, v69
	v_pack_b32_f16 v130, v130, v131
	v_add_u32_e32 v3, 0x1400, v2
	v_pack_b32_f16 v81, v81, v82
	v_add_f16_e32 v66, v67, v66
	v_sub_f16_e32 v67, v69, v78
	v_sub_f16_e32 v64, v68, v64
	v_add_f16_e32 v65, v65, v76
	ds_write2_b32 v3, v94, v130 offset0:92 offset1:141
	ds_write2_b32 v3, v80, v81 offset0:190 offset1:239
	v_accvgpr_write_b32 a42, v3
	v_pack_b32_f16 v66, v66, v67
	v_pack_b32_f16 v64, v64, v65
	v_add_u32_e32 v3, 0x1800, v2
	ds_write2_b32 v3, v66, v64 offset0:32 offset1:81
	v_lshrrev_b32_e32 v64, 16, v95
	s_waitcnt vmcnt(2)
	v_mul_f16_sdwa v66, v95, v45 dst_sel:DWORD dst_unused:UNUSED_PAD src0_sel:DWORD src1_sel:WORD_1
	v_mul_f16_sdwa v65, v64, v45 dst_sel:DWORD dst_unused:UNUSED_PAD src0_sel:DWORD src1_sel:WORD_1
	v_fma_f16 v64, v64, v45, v66
	v_lshrrev_b32_e32 v66, 16, v93
	v_mul_f16_sdwa v68, v93, v47 dst_sel:DWORD dst_unused:UNUSED_PAD src0_sel:DWORD src1_sel:WORD_1
	v_mul_f16_sdwa v67, v66, v47 dst_sel:DWORD dst_unused:UNUSED_PAD src0_sel:DWORD src1_sel:WORD_1
	v_fma_f16 v66, v66, v47, v68
	v_lshrrev_b32_e32 v68, 16, v79
	;; [unrolled: 4-line block ×3, first 2 shown]
	v_mul_f16_sdwa v78, v74, v44 dst_sel:DWORD dst_unused:UNUSED_PAD src0_sel:DWORD src1_sel:WORD_1
	v_fma_f16 v78, v76, v44, v78
	v_mul_f16_sdwa v76, v76, v44 dst_sel:DWORD dst_unused:UNUSED_PAD src0_sel:DWORD src1_sel:WORD_1
	v_fma_f16 v69, v79, v115, -v69
	v_fma_f16 v74, v74, v44, -v76
	v_add_f16_e32 v76, v74, v69
	v_sub_f16_e32 v69, v74, v69
	v_add_f16_e32 v74, v78, v68
	v_sub_f16_e32 v68, v78, v68
	v_lshrrev_b32_e32 v78, 16, v70
	v_mul_f16_sdwa v79, v70, v114 dst_sel:DWORD dst_unused:UNUSED_PAD src0_sel:DWORD src1_sel:WORD_1
	v_fma_f16 v79, v78, v114, v79
	v_mul_f16_sdwa v78, v78, v114 dst_sel:DWORD dst_unused:UNUSED_PAD src0_sel:DWORD src1_sel:WORD_1
	v_fma_f16 v65, v95, v45, -v65
	v_fma_f16 v70, v70, v114, -v78
	v_add_f16_e32 v78, v65, v70
	v_sub_f16_e32 v65, v65, v70
	v_add_f16_e32 v70, v64, v79
	v_sub_f16_e32 v64, v64, v79
	v_lshrrev_b32_e32 v79, 16, v72
	v_mul_f16_sdwa v80, v72, v46 dst_sel:DWORD dst_unused:UNUSED_PAD src0_sel:DWORD src1_sel:WORD_1
	v_fma_f16 v80, v79, v46, v80
	v_mul_f16_sdwa v79, v79, v46 dst_sel:DWORD dst_unused:UNUSED_PAD src0_sel:DWORD src1_sel:WORD_1
	v_fma_f16 v67, v93, v47, -v67
	v_fma_f16 v72, v72, v46, -v79
	v_add_f16_e32 v79, v72, v67
	v_sub_f16_e32 v67, v67, v72
	v_add_f16_e32 v72, v80, v66
	v_sub_f16_e32 v66, v66, v80
	v_add_f16_e32 v80, v78, v76
	v_add_f16_e32 v81, v70, v74
	;; [unrolled: 1-line block ×5, first 2 shown]
	v_add_f16_sdwa v77, v81, v77 dst_sel:DWORD dst_unused:UNUSED_PAD src0_sel:DWORD src1_sel:WORD_1
	v_lshlrev_b32_e32 v83, 16, v77
	v_sub_f16_e32 v85, v67, v65
	v_or_b32_e32 v83, v83, v82
	v_fma_f16 v80, v80, s6, v82
	v_sub_f16_e32 v82, v74, v72
	v_add_f16_e32 v84, v67, v65
	v_sub_f16_e32 v87, v66, v64
	v_mul_f16_e32 v85, 0xb846, v85
	v_sub_f16_e32 v65, v65, v69
	v_fma_f16 v77, v81, s6, v77
	v_sub_f16_e32 v81, v76, v79
	v_sub_f16_e32 v79, v79, v78
	;; [unrolled: 1-line block ×4, first 2 shown]
	v_add_f16_e32 v86, v66, v64
	v_mul_f16_e32 v82, 0x3a52, v82
	v_mul_f16_e32 v87, 0xb846, v87
	v_sub_f16_e32 v70, v70, v74
	v_sub_f16_e32 v64, v64, v68
	v_fma_f16 v74, v65, s13, -v85
	v_mul_f16_e32 v65, 0xbb00, v65
	v_sub_f16_e32 v66, v68, v66
	v_add_f16_e32 v86, v86, v68
	v_mul_f16_e32 v81, 0x3a52, v81
	v_fma_f16 v93, v72, s8, v82
	v_fma_f16 v94, v67, s7, v85
	v_sub_f16_e32 v76, v78, v76
	v_mul_f16_e32 v68, 0x2b26, v79
	v_mul_f16_e32 v72, 0x2b26, v72
	v_fma_f16 v65, v67, s2, v65
	v_fma_f16 v67, v64, s13, -v87
	v_mul_f16_e32 v64, 0xbb00, v64
	v_add_f16_e32 v84, v84, v69
	v_fma_f16 v68, v76, s9, -v68
	v_fma_f16 v69, v76, s3, -v81
	;; [unrolled: 1-line block ×4, first 2 shown]
	v_fma_f16 v64, v66, s2, v64
	v_fma_f16 v95, v66, s7, v87
	v_add_f16_e32 v66, v68, v80
	v_add_f16_e32 v68, v69, v80
	;; [unrolled: 1-line block ×3, first 2 shown]
	v_fma_f16 v65, v84, s12, v65
	v_fma_f16 v64, v86, s12, v64
	v_add_f16_e32 v69, v72, v77
	v_fma_f16 v72, v84, s12, v74
	v_fma_f16 v67, v86, s12, v67
	v_add_f16_e32 v74, v64, v68
	v_sub_f16_e32 v76, v70, v65
	v_accvgpr_write_b32 a43, v3
	v_add_f16_e32 v93, v93, v77
	v_lshlrev_b32_e32 v3, 2, v136
	v_pack_b32_f16 v74, v74, v76
	v_sub_f16_e32 v76, v66, v67
	v_add_f16_e32 v77, v72, v69
	v_add_f16_e32 v66, v67, v66
	v_sub_f16_e32 v67, v69, v72
	v_sub_f16_e32 v64, v68, v64
	v_add_f16_e32 v65, v65, v70
	v_pack_b32_f16 v76, v76, v77
	v_add_u32_e32 v77, 0x1c00, v3
	v_pack_b32_f16 v66, v66, v67
	v_pack_b32_f16 v64, v64, v65
	ds_write2_b32 v77, v66, v64 offset0:119 offset1:168
	v_lshrrev_b32_e32 v64, 16, v75
	s_waitcnt vmcnt(0)
	v_mul_f16_sdwa v66, v75, v32 dst_sel:DWORD dst_unused:UNUSED_PAD src0_sel:DWORD src1_sel:WORD_1
	v_mul_f16_sdwa v65, v64, v32 dst_sel:DWORD dst_unused:UNUSED_PAD src0_sel:DWORD src1_sel:WORD_1
	v_fma_f16 v64, v64, v32, v66
	v_lshrrev_b32_e32 v66, 16, v10
	v_mul_f16_sdwa v67, v66, v33 dst_sel:DWORD dst_unused:UNUSED_PAD src0_sel:DWORD src1_sel:WORD_1
	v_fma_f16 v67, v10, v33, -v67
	v_mul_f16_sdwa v10, v10, v33 dst_sel:DWORD dst_unused:UNUSED_PAD src0_sel:DWORD src1_sel:WORD_1
	v_fma_f16 v10, v66, v33, v10
	v_lshrrev_b32_e32 v66, 16, v73
	v_mul_f16_sdwa v69, v73, v34 dst_sel:DWORD dst_unused:UNUSED_PAD src0_sel:DWORD src1_sel:WORD_1
	v_mul_f16_sdwa v68, v66, v34 dst_sel:DWORD dst_unused:UNUSED_PAD src0_sel:DWORD src1_sel:WORD_1
	v_fma_f16 v66, v66, v34, v69
	v_lshrrev_b32_e32 v69, 16, v8
	v_mul_f16_sdwa v70, v69, v35 dst_sel:DWORD dst_unused:UNUSED_PAD src0_sel:DWORD src1_sel:WORD_1
	v_fma_f16 v70, v8, v35, -v70
	v_mul_f16_sdwa v8, v8, v35 dst_sel:DWORD dst_unused:UNUSED_PAD src0_sel:DWORD src1_sel:WORD_1
	v_fma_f16 v8, v69, v35, v8
	v_lshrrev_b32_e32 v69, 16, v71
	v_mul_f16_sdwa v72, v69, v112 dst_sel:DWORD dst_unused:UNUSED_PAD src0_sel:DWORD src1_sel:WORD_1
	v_fma_f16 v72, v71, v112, -v72
	v_mul_f16_sdwa v71, v71, v112 dst_sel:DWORD dst_unused:UNUSED_PAD src0_sel:DWORD src1_sel:WORD_1
	v_fma_f16 v69, v69, v112, v71
	v_lshrrev_b32_e32 v71, 16, v9
	v_fma_f16 v68, v73, v34, -v68
	v_mul_f16_sdwa v73, v71, v113 dst_sel:DWORD dst_unused:UNUSED_PAD src0_sel:DWORD src1_sel:WORD_1
	v_fma_f16 v73, v9, v113, -v73
	v_mul_f16_sdwa v9, v9, v113 dst_sel:DWORD dst_unused:UNUSED_PAD src0_sel:DWORD src1_sel:WORD_1
	v_fma_f16 v65, v75, v32, -v65
	v_fma_f16 v9, v71, v113, v9
	v_add_f16_e32 v71, v65, v73
	v_sub_f16_e32 v65, v65, v73
	v_add_f16_e32 v73, v64, v9
	v_sub_f16_e32 v9, v64, v9
	;; [unrolled: 2-line block ×3, first 2 shown]
	v_add_f16_e32 v72, v10, v69
	ds_write2_b32 v77, v74, v76 offset0:21 offset1:70
	v_sub_f16_e32 v10, v10, v69
	v_add_f16_e32 v69, v68, v70
	v_sub_f16_e32 v68, v70, v68
	v_add_f16_e32 v70, v66, v8
	;; [unrolled: 2-line block ×3, first 2 shown]
	v_add_f16_e32 v74, v72, v73
	v_add_f16_e32 v66, v69, v66
	;; [unrolled: 1-line block ×3, first 2 shown]
	v_fma_f16 v92, v79, s8, v81
	v_add_f16_e32 v75, v66, v6
	v_add_f16_sdwa v6, v74, v6 dst_sel:DWORD dst_unused:UNUSED_PAD src0_sel:DWORD src1_sel:WORD_1
	v_add_f16_e32 v92, v92, v80
	v_fma_f16 v94, v84, s12, v94
	v_fma_f16 v122, v86, s12, v95
	v_lshlrev_b32_e32 v76, 16, v6
	v_add_f16_e32 v95, v122, v92
	v_sub_f16_e32 v123, v93, v94
	v_or_b32_e32 v76, v76, v75
	v_fma_f16 v66, v66, s6, v75
	v_fma_f16 v6, v74, s6, v6
	v_sub_f16_e32 v74, v71, v69
	v_sub_f16_e32 v75, v73, v70
	;; [unrolled: 1-line block ×4, first 2 shown]
	v_pack_b32_f16 v95, v95, v123
	v_add_u32_e32 v96, 0x1800, v3
	v_accvgpr_write_b32 a45, v77
	v_sub_f16_e32 v69, v69, v64
	v_sub_f16_e32 v70, v70, v72
	v_add_f16_e32 v77, v68, v67
	v_sub_f16_e32 v68, v65, v68
	v_add_f16_e32 v79, v8, v10
	v_sub_f16_e32 v8, v9, v8
	v_mul_f16_e32 v74, 0x3a52, v74
	v_mul_f16_e32 v75, 0x3a52, v75
	;; [unrolled: 1-line block ×4, first 2 shown]
	ds_write2_b32 v96, v83, v95 offset0:179 offset1:228
	v_add_f16_e32 v77, v77, v65
	v_add_f16_e32 v79, v79, v9
	v_fma_f16 v81, v69, s8, v74
	v_fma_f16 v82, v70, s8, v75
	;; [unrolled: 1-line block ×4, first 2 shown]
	v_add_f16_e32 v81, v81, v66
	v_add_f16_e32 v82, v82, v6
	v_fma_f16 v83, v77, s12, v83
	v_fma_f16 v84, v79, s12, v84
	v_sub_f16_e32 v65, v67, v65
	v_add_f16_e32 v85, v84, v81
	v_sub_f16_e32 v86, v82, v83
	v_lshlrev_b32_e32 v5, 2, v5
	v_sub_f16_e32 v9, v10, v9
	v_mul_f16_e32 v10, 0x2b26, v69
	v_fma_f16 v69, v65, s13, -v78
	v_mul_f16_e32 v65, 0xbb00, v65
	v_pack_b32_f16 v85, v85, v86
	v_add_u32_e32 v87, 0x2000, v5
	v_mov_b32_e32 v86, v5
	v_sub_f16_e32 v5, v64, v71
	v_sub_f16_e32 v64, v72, v73
	v_mul_f16_e32 v67, 0x2b26, v70
	v_fma_f16 v65, v68, s2, v65
	v_fma_f16 v68, v9, s13, -v80
	v_mul_f16_e32 v9, 0xbb00, v9
	v_fma_f16 v10, v5, s9, -v10
	v_fma_f16 v5, v5, s3, -v74
	;; [unrolled: 1-line block ×4, first 2 shown]
	v_fma_f16 v8, v8, s2, v9
	v_add_f16_e32 v9, v10, v66
	v_add_f16_e32 v5, v5, v66
	;; [unrolled: 1-line block ×4, first 2 shown]
	v_fma_f16 v65, v77, s12, v65
	v_fma_f16 v8, v79, s12, v8
	v_fma_f16 v64, v77, s12, v69
	v_fma_f16 v66, v79, s12, v68
	v_add_f16_e32 v67, v8, v5
	v_sub_f16_e32 v68, v6, v65
	v_pack_b32_f16 v67, v67, v68
	v_sub_f16_e32 v68, v9, v66
	v_add_f16_e32 v69, v64, v10
	v_add_f16_e32 v9, v66, v9
	v_sub_f16_e32 v10, v10, v64
	v_sub_f16_e32 v5, v5, v8
	v_add_f16_e32 v6, v65, v6
	v_pack_b32_f16 v8, v9, v10
	v_pack_b32_f16 v5, v5, v6
	ds_write2_b32 v87, v8, v5 offset0:206 offset1:255
	v_sub_f16_e32 v5, v7, v63
	v_add_f16_e32 v6, v62, v11
	v_sub_f16_e32 v7, v133, v137
	v_add_f16_e32 v8, v135, v134
	v_pack_b32_f16 v5, v5, v6
	v_sub_f16_e32 v9, v126, v129
	v_add_f16_e32 v10, v128, v127
	ds_write_b32 v0, v5 offset:3920
	v_pack_b32_f16 v5, v7, v8
	v_sub_f16_e32 v11, v92, v122
	v_add_f16_e32 v62, v94, v93
	ds_write_b32 v1, v5 offset:5292
	;; [unrolled: 4-line block ×3, first 2 shown]
	v_pack_b32_f16 v5, v11, v62
	v_pack_b32_f16 v68, v68, v69
	ds_write_b32 v3, v5 offset:8036
	v_pack_b32_f16 v5, v63, v64
	ds_write2_b32 v87, v76, v85 offset0:10 offset1:59
	ds_write2_b32 v87, v67, v68 offset0:108 offset1:157
	ds_write_b32 v86, v5 offset:9408
	s_waitcnt lgkmcnt(0)
	; wave barrier
	s_waitcnt lgkmcnt(0)
	global_load_dwordx4 v[8:11], v[60:61], off offset:1344
	v_mad_u64_u32 v[76:77], s[10:11], v4, 24, s[10:11]
	v_accvgpr_write_b32 a49, v1
	global_load_dwordx4 v[214:217], v[76:77], off offset:1344
	global_load_dwordx2 v[150:151], v[60:61], off offset:1360
	global_load_dwordx2 v[0:1], v[76:77], off offset:1360
	ds_read2_b32 v[60:61], v207 offset0:174 offset1:223
	ds_read2_b32 v[62:63], v163 offset0:92 offset1:141
	;; [unrolled: 1-line block ×5, first 2 shown]
	s_waitcnt lgkmcnt(4)
	v_lshrrev_b32_e32 v6, 16, v61
	v_lshrrev_b32_e32 v4, 16, v60
	ds_read2_b32 v[92:93], v212 offset1:49
	v_accvgpr_write_b32 a46, v86
	v_accvgpr_write_b32 a50, v87
	;; [unrolled: 1-line block ×3, first 2 shown]
	v_mov_b32_e32 v96, v212
	s_mov_b64 s[10:11], 0x498
	v_accvgpr_write_b32 a48, v2
	v_accvgpr_write_b32 a47, v3
	s_waitcnt vmcnt(3)
	v_mul_f16_sdwa v5, v60, v9 dst_sel:DWORD dst_unused:UNUSED_PAD src0_sel:DWORD src1_sel:WORD_1
	v_fma_f16 v5, v4, v9, v5
	s_waitcnt vmcnt(2)
	v_mul_f16_sdwa v7, v6, v215 dst_sel:DWORD dst_unused:UNUSED_PAD src0_sel:DWORD src1_sel:WORD_1
	v_mul_f16_sdwa v4, v4, v9 dst_sel:DWORD dst_unused:UNUSED_PAD src0_sel:DWORD src1_sel:WORD_1
	v_fma_f16 v124, v61, v215, -v7
	v_mul_f16_sdwa v7, v61, v215 dst_sel:DWORD dst_unused:UNUSED_PAD src0_sel:DWORD src1_sel:WORD_1
	v_fma_f16 v4, v60, v9, -v4
	v_fma_f16 v125, v6, v215, v7
	s_waitcnt lgkmcnt(4)
	v_lshrrev_b32_e32 v6, 16, v62
	v_mul_f16_sdwa v7, v62, v11 dst_sel:DWORD dst_unused:UNUSED_PAD src0_sel:DWORD src1_sel:WORD_1
	ds_read2_b32 v[60:61], v209 offset0:10 offset1:59
	v_fma_f16 v7, v6, v11, v7
	v_mul_f16_sdwa v6, v6, v11 dst_sel:DWORD dst_unused:UNUSED_PAD src0_sel:DWORD src1_sel:WORD_1
	v_fma_f16 v6, v62, v11, -v6
	v_lshrrev_b32_e32 v62, 16, v63
	v_mul_f16_sdwa v64, v62, v217 dst_sel:DWORD dst_unused:UNUSED_PAD src0_sel:DWORD src1_sel:WORD_1
	v_fma_f16 v128, v63, v217, -v64
	v_mul_f16_sdwa v63, v63, v217 dst_sel:DWORD dst_unused:UNUSED_PAD src0_sel:DWORD src1_sel:WORD_1
	v_fma_f16 v129, v62, v217, v63
	s_waitcnt lgkmcnt(0)
	v_lshrrev_b32_e32 v62, 16, v60
	s_waitcnt vmcnt(1)
	v_mul_f16_sdwa v63, v60, v151 dst_sel:DWORD dst_unused:UNUSED_PAD src0_sel:DWORD src1_sel:WORD_1
	v_fma_f16 v63, v62, v151, v63
	v_mul_f16_sdwa v62, v62, v151 dst_sel:DWORD dst_unused:UNUSED_PAD src0_sel:DWORD src1_sel:WORD_1
	v_fma_f16 v60, v60, v151, -v62
	v_lshrrev_b32_e32 v62, 16, v61
	s_waitcnt vmcnt(0)
	v_mul_f16_sdwa v64, v62, v1 dst_sel:DWORD dst_unused:UNUSED_PAD src0_sel:DWORD src1_sel:WORD_1
	v_fma_f16 v237, v61, v1, -v64
	v_mul_f16_sdwa v61, v61, v1 dst_sel:DWORD dst_unused:UNUSED_PAD src0_sel:DWORD src1_sel:WORD_1
	v_fma_f16 v238, v62, v1, v61
	v_lshrrev_b32_e32 v61, 16, v133
	v_mul_f16_sdwa v62, v133, v8 dst_sel:DWORD dst_unused:UNUSED_PAD src0_sel:DWORD src1_sel:WORD_1
	v_fma_f16 v62, v61, v8, v62
	v_mul_f16_sdwa v61, v61, v8 dst_sel:DWORD dst_unused:UNUSED_PAD src0_sel:DWORD src1_sel:WORD_1
	v_fma_f16 v61, v133, v8, -v61
	v_add_f16_e32 v64, v61, v60
	v_sub_f16_e32 v60, v61, v60
	v_add_f16_e32 v61, v62, v63
	v_sub_f16_e32 v62, v62, v63
	v_lshrrev_b32_e32 v63, 16, v131
	v_mul_f16_sdwa v65, v131, v150 dst_sel:DWORD dst_unused:UNUSED_PAD src0_sel:DWORD src1_sel:WORD_1
	v_fma_f16 v65, v63, v150, v65
	v_mul_f16_sdwa v63, v63, v150 dst_sel:DWORD dst_unused:UNUSED_PAD src0_sel:DWORD src1_sel:WORD_1
	v_fma_f16 v63, v131, v150, -v63
	v_add_f16_e32 v66, v4, v63
	v_sub_f16_e32 v4, v4, v63
	v_add_f16_e32 v63, v5, v65
	v_sub_f16_e32 v5, v5, v65
	;; [unrolled: 9-line block ×3, first 2 shown]
	v_add_f16_e32 v67, v66, v64
	v_sub_f16_e32 v69, v66, v64
	v_sub_f16_e32 v64, v64, v68
	v_sub_f16_e32 v66, v68, v66
	v_add_f16_e32 v67, v68, v67
	v_add_f16_e32 v68, v63, v61
	v_sub_f16_e32 v70, v63, v61
	v_sub_f16_e32 v61, v61, v65
	v_sub_f16_e32 v63, v65, v63
	v_add_f16_e32 v65, v65, v68
	v_add_f16_e32 v68, v6, v4
	v_sub_f16_e32 v71, v6, v4
	v_sub_f16_e32 v6, v60, v6
	v_sub_f16_e32 v4, v4, v60
	v_add_f16_e32 v68, v68, v60
	v_add_f16_e32 v60, v7, v5
	v_add_f16_sdwa v74, v65, v92 dst_sel:DWORD dst_unused:UNUSED_PAD src0_sel:DWORD src1_sel:WORD_1
	v_sub_f16_e32 v72, v7, v5
	v_sub_f16_e32 v7, v62, v7
	;; [unrolled: 1-line block ×3, first 2 shown]
	v_add_f16_e32 v62, v60, v62
	v_add_f16_e32 v73, v67, v92
	v_lshlrev_b32_e32 v60, 16, v74
	v_or_b32_e32 v60, v60, v73
	v_fma_f16 v67, v67, s6, v73
	v_mul_f16_e32 v64, 0x3a52, v64
	v_mul_f16_e32 v73, 0x2b26, v66
	v_fma_f16 v66, v66, s8, v64
	v_fma_f16 v73, v69, s9, -v73
	v_fma_f16 v64, v69, s3, -v64
	v_mul_f16_e32 v61, 0x3a52, v61
	v_mul_f16_e32 v69, 0x2b26, v63
	v_fma_f16 v63, v63, s8, v61
	v_fma_f16 v69, v70, s9, -v69
	v_fma_f16 v61, v70, s3, -v61
	v_mul_f16_e32 v70, 0xb846, v71
	v_mul_f16_e32 v71, 0xbb00, v4
	v_fma_f16 v4, v4, s13, -v70
	v_fma_f16 v70, v6, s7, v70
	v_fma_f16 v6, v6, s2, v71
	v_mul_f16_e32 v71, 0xb846, v72
	v_mul_f16_e32 v72, 0xbb00, v5
	v_fma_f16 v65, v65, s6, v74
	v_fma_f16 v5, v5, s13, -v71
	v_fma_f16 v71, v7, s7, v71
	v_fma_f16 v7, v7, s2, v72
	v_add_f16_e32 v66, v66, v67
	v_add_f16_e32 v72, v73, v67
	;; [unrolled: 1-line block ×6, first 2 shown]
	v_fma_f16 v6, v68, s12, v6
	v_fma_f16 v5, v62, s12, v5
	;; [unrolled: 1-line block ×6, first 2 shown]
	v_sub_f16_e32 v61, v72, v5
	v_add_f16_e32 v62, v5, v72
	v_add_f16_e32 v73, v7, v64
	v_sub_f16_e32 v70, v64, v7
	v_sub_f16_e32 v74, v65, v6
	v_add_f16_e32 v72, v6, v65
	ds_read2_b32 v[64:65], v159 offset0:136 offset1:185
	v_add_f16_e32 v79, v68, v66
	v_sub_f16_e32 v75, v66, v68
	v_sub_f16_e32 v85, v67, v69
	v_add_f16_e32 v78, v69, v67
	ds_read2_b32 v[66:67], v175 offset0:54 offset1:103
	ds_read2_b32 v[68:69], v156 offset0:100 offset1:149
	v_add_f16_e32 v71, v4, v63
	v_sub_f16_e32 v63, v63, v4
	s_waitcnt lgkmcnt(2)
	v_lshrrev_b32_e32 v4, 16, v64
	v_mul_f16_sdwa v5, v64, v214 dst_sel:DWORD dst_unused:UNUSED_PAD src0_sel:DWORD src1_sel:WORD_1
	v_fma_f16 v135, v4, v214, v5
	v_mul_f16_sdwa v4, v4, v214 dst_sel:DWORD dst_unused:UNUSED_PAD src0_sel:DWORD src1_sel:WORD_1
	v_fma_f16 v239, v64, v214, -v4
	s_waitcnt lgkmcnt(1)
	v_lshrrev_b32_e32 v4, 16, v66
	v_mul_f16_sdwa v5, v66, v216 dst_sel:DWORD dst_unused:UNUSED_PAD src0_sel:DWORD src1_sel:WORD_1
	v_fma_f16 v81, v4, v216, v5
	v_mul_f16_sdwa v4, v4, v216 dst_sel:DWORD dst_unused:UNUSED_PAD src0_sel:DWORD src1_sel:WORD_1
	v_fma_f16 v82, v66, v216, -v4
	;; [unrolled: 6-line block ×3, first 2 shown]
	v_add_f16_e32 v64, v239, v237
	v_add_f16_e32 v66, v124, v84
	;; [unrolled: 1-line block ×10, first 2 shown]
	v_pack_b32_f16 v4, v79, v85
	ds_write_b32 v212, v4 offset:1372
	v_pack_b32_f16 v4, v73, v74
	ds_write_b32 v212, v4 offset:2744
	;; [unrolled: 2-line block ×4, first 2 shown]
	v_pack_b32_f16 v4, v70, v72
	v_add_f16_e32 v92, v86, v93
	v_add_f16_sdwa v93, v87, v93 dst_sel:DWORD dst_unused:UNUSED_PAD src0_sel:DWORD src1_sel:WORD_1
	ds_write_b32 v212, v4 offset:6860
	v_pack_b32_f16 v4, v75, v78
	ds_write_b32 v212, v4 offset:8232
	v_lshlrev_b32_e32 v4, 16, v93
	v_or_b32_e32 v4, v4, v92
	ds_read_b32 v133, v212 offset:9408
	ds_read2_b32 v[70:71], v212 offset0:98 offset1:147
	ds_read2_b32 v[242:243], v161 offset0:16 offset1:65
	;; [unrolled: 1-line block ×14, first 2 shown]
	ds_write2_b32 v212, v60, v4 offset1:49
	global_load_dwordx4 v[60:63], v[76:77], off offset:2520
	global_load_dwordx2 v[122:123], v[76:77], off offset:2536
	v_lshrrev_b32_e32 v4, 16, v65
	v_fma_f16 v86, v86, s6, v92
	v_fma_f16 v87, v87, s6, v93
	s_waitcnt lgkmcnt(11)
	v_lshrrev_b32_e32 v92, 16, v246
	v_sub_f16_e32 v84, v124, v84
	v_sub_f16_e32 v83, v125, v83
	;; [unrolled: 1-line block ×8, first 2 shown]
	v_add_f16_e32 v213, v82, v84
	v_add_f16_e32 v238, v81, v83
	v_mul_f16_e32 v212, 0x3a52, v212
	v_add_f16_e32 v238, v238, v85
	v_fma_f16 v241, v80, s8, v212
	v_add_f16_e32 v241, v241, v87
	v_mul_f16_e32 v80, 0x2b26, v80
	v_accvgpr_write_b32 a41, v1
	v_accvgpr_write_b32 a40, v0
	s_waitcnt vmcnt(1)
	v_mul_f16_sdwa v5, v4, v60 dst_sel:DWORD dst_unused:UNUSED_PAD src0_sel:DWORD src1_sel:WORD_1
	v_mul_f16_sdwa v6, v65, v60 dst_sel:DWORD dst_unused:UNUSED_PAD src0_sel:DWORD src1_sel:WORD_1
	s_waitcnt vmcnt(0)
	v_mul_f16_sdwa v93, v246, v123 dst_sel:DWORD dst_unused:UNUSED_PAD src0_sel:DWORD src1_sel:WORD_1
	v_fma_f16 v5, v65, v60, -v5
	v_fma_f16 v4, v4, v60, v6
	v_lshrrev_b32_e32 v6, 16, v67
	v_mul_f16_sdwa v65, v67, v62 dst_sel:DWORD dst_unused:UNUSED_PAD src0_sel:DWORD src1_sel:WORD_1
	v_fma_f16 v93, v92, v123, v93
	v_mul_f16_sdwa v92, v92, v123 dst_sel:DWORD dst_unused:UNUSED_PAD src0_sel:DWORD src1_sel:WORD_1
	v_mul_f16_sdwa v7, v6, v62 dst_sel:DWORD dst_unused:UNUSED_PAD src0_sel:DWORD src1_sel:WORD_1
	v_fma_f16 v6, v6, v62, v65
	v_lshrrev_b32_e32 v65, 16, v69
	v_fma_f16 v92, v246, v123, -v92
	v_fma_f16 v7, v67, v62, -v7
	v_mul_f16_sdwa v67, v65, v122 dst_sel:DWORD dst_unused:UNUSED_PAD src0_sel:DWORD src1_sel:WORD_1
	v_add_f16_e32 v94, v5, v92
	v_sub_f16_e32 v5, v5, v92
	v_add_f16_e32 v92, v4, v93
	v_sub_f16_e32 v4, v4, v93
	v_lshrrev_b32_e32 v93, 16, v242
	v_mul_f16_sdwa v124, v242, v61 dst_sel:DWORD dst_unused:UNUSED_PAD src0_sel:DWORD src1_sel:WORD_1
	v_fma_f16 v67, v69, v122, -v67
	v_mul_f16_sdwa v69, v69, v122 dst_sel:DWORD dst_unused:UNUSED_PAD src0_sel:DWORD src1_sel:WORD_1
	v_fma_f16 v124, v93, v61, v124
	v_mul_f16_sdwa v93, v93, v61 dst_sel:DWORD dst_unused:UNUSED_PAD src0_sel:DWORD src1_sel:WORD_1
	v_fma_f16 v65, v65, v122, v69
	v_fma_f16 v93, v242, v61, -v93
	v_add_f16_e32 v125, v93, v67
	v_sub_f16_e32 v67, v93, v67
	v_add_f16_e32 v93, v124, v65
	v_sub_f16_e32 v65, v124, v65
	v_lshrrev_b32_e32 v124, 16, v244
	v_mul_f16_sdwa v128, v244, v63 dst_sel:DWORD dst_unused:UNUSED_PAD src0_sel:DWORD src1_sel:WORD_1
	v_fma_f16 v128, v124, v63, v128
	v_mul_f16_sdwa v124, v124, v63 dst_sel:DWORD dst_unused:UNUSED_PAD src0_sel:DWORD src1_sel:WORD_1
	v_fma_f16 v124, v244, v63, -v124
	v_sub_f16_e32 v69, v239, v237
	v_add_f16_e32 v129, v7, v124
	v_sub_f16_e32 v7, v124, v7
	v_add_f16_e32 v124, v6, v128
	v_sub_f16_e32 v6, v128, v6
	v_sub_f16_e32 v128, v64, v240
	;; [unrolled: 1-line block ×6, first 2 shown]
	v_mul_f16_e32 v128, 0x3a52, v128
	v_mul_f16_e32 v237, 0xb846, v237
	;; [unrolled: 1-line block ×3, first 2 shown]
	v_add_f16_e32 v252, v7, v67
	v_add_f16_e32 v213, v213, v69
	v_fma_f16 v240, v135, s8, v128
	v_fma_f16 v242, v82, s7, v237
	;; [unrolled: 1-line block ×3, first 2 shown]
	v_sub_f16_e32 v253, v7, v67
	v_sub_f16_e32 v7, v5, v7
	v_add_f16_e32 v254, v6, v65
	v_add_f16_e32 v252, v252, v5
	v_sub_f16_e32 v64, v66, v64
	v_sub_f16_e32 v66, v131, v68
	;; [unrolled: 1-line block ×4, first 2 shown]
	v_add_f16_e32 v240, v240, v86
	v_fma_f16 v242, v213, s12, v242
	v_fma_f16 v244, v238, s12, v244
	v_sub_f16_e32 v210, v6, v65
	v_sub_f16_e32 v6, v4, v6
	v_add_f16_e32 v254, v254, v4
	v_mul_f16_e32 v253, 0xb846, v253
	v_sub_f16_e32 v69, v83, v85
	v_mul_f16_e32 v83, 0xbb00, v68
	v_sub_f16_e32 v4, v65, v4
	v_mul_f16_e32 v65, 0xbb00, v5
	v_add_f16_e32 v246, v244, v240
	v_sub_f16_e32 v248, v241, v242
	v_mul_f16_e32 v210, 0xb846, v210
	v_fma_f16 v219, v7, s7, v253
	v_fma_f16 v82, v82, s2, v83
	v_mul_f16_e32 v83, 0xbb00, v69
	v_fma_f16 v7, v7, s2, v65
	v_mul_f16_e32 v65, 0xbb00, v4
	v_pack_b32_f16 v246, v246, v248
	v_add_f16_e32 v248, v125, v94
	v_add_f16_e32 v250, v93, v92
	v_fma_f16 v222, v6, s7, v210
	v_fma_f16 v81, v81, s2, v83
	;; [unrolled: 1-line block ×3, first 2 shown]
	v_fma_f16 v65, v64, s3, -v128
	v_fma_f16 v67, v66, s3, -v212
	v_add_f16_e32 v248, v129, v248
	v_sub_f16_e32 v249, v94, v129
	v_add_f16_e32 v250, v124, v250
	v_sub_f16_e32 v251, v92, v124
	v_add_f16_e32 v65, v65, v86
	v_add_f16_e32 v67, v67, v87
	v_fma_f16 v82, v213, s12, v82
	v_fma_f16 v81, v238, s12, v81
	v_mul_f16_e32 v249, 0x3a52, v249
	v_mul_f16_e32 v251, 0x3a52, v251
	v_add_f16_e32 v160, v248, v70
	v_add_f16_sdwa v70, v250, v70 dst_sel:DWORD dst_unused:UNUSED_PAD src0_sel:DWORD src1_sel:WORD_1
	v_sub_f16_e32 v83, v125, v94
	v_sub_f16_e32 v84, v93, v92
	v_add_f16_e32 v85, v81, v65
	v_sub_f16_e32 v92, v67, v82
	v_sub_f16_e32 v124, v124, v93
	v_fma_f16 v248, v248, s6, v160
	v_fma_f16 v250, v250, s6, v70
	v_pack_b32_f16 v85, v85, v92
	v_fma_f16 v92, v83, s3, -v249
	v_fma_f16 v93, v84, s3, -v251
	v_add_f16_e32 v92, v92, v248
	v_add_f16_e32 v93, v93, v250
	v_fma_f16 v7, v252, s12, v7
	v_fma_f16 v6, v254, s12, v6
	v_sub_f16_e32 v129, v129, v125
	v_add_f16_e32 v94, v6, v92
	v_sub_f16_e32 v125, v93, v7
	v_pack_b32_f16 v94, v94, v125
	ds_write2_b32 v158, v85, v94 offset0:95 offset1:144
	v_mul_f16_e32 v85, 0x2b26, v135
	v_fma_f16 v66, v66, s9, -v80
	v_mul_f16_e32 v80, 0x2b26, v129
	v_fma_f16 v64, v64, s9, -v85
	v_fma_f16 v68, v68, s13, -v237
	;; [unrolled: 1-line block ×4, first 2 shown]
	v_mul_f16_e32 v83, 0x2b26, v124
	v_add_f16_e32 v64, v64, v86
	v_add_f16_e32 v66, v66, v87
	v_fma_f16 v68, v213, s12, v68
	v_fma_f16 v69, v238, s12, v69
	v_fma_f16 v83, v84, s9, -v83
	v_fma_f16 v5, v5, s13, -v253
	;; [unrolled: 1-line block ×3, first 2 shown]
	v_add_f16_e32 v80, v80, v248
	v_add_f16_e32 v83, v83, v250
	v_fma_f16 v5, v252, s12, v5
	v_fma_f16 v4, v254, s12, v4
	v_sub_f16_e32 v84, v64, v69
	v_add_f16_e32 v85, v68, v66
	v_pack_b32_f16 v84, v84, v85
	v_sub_f16_e32 v85, v80, v4
	v_add_f16_e32 v86, v5, v83
	v_add_f16_e32 v64, v69, v64
	v_sub_f16_e32 v66, v66, v68
	v_add_f16_e32 v4, v4, v80
	v_sub_f16_e32 v5, v83, v5
	v_pack_b32_f16 v64, v64, v66
	v_pack_b32_f16 v4, v4, v5
	ds_write2_b32 v163, v64, v4 offset0:141 offset1:190
	v_sub_f16_e32 v4, v65, v81
	v_add_f16_e32 v5, v82, v67
	global_load_dwordx4 v[64:67], v[76:77], off offset:3696
	v_fma_f16 v230, v124, s8, v251
	global_load_dwordx2 v[124:125], v[76:77], off offset:3712
	v_fma_f16 v232, v129, s8, v249
	v_sub_f16_e32 v6, v92, v6
	v_add_f16_e32 v7, v7, v93
	v_add_f16_e32 v232, v232, v248
	;; [unrolled: 1-line block ×3, first 2 shown]
	v_fma_f16 v219, v252, s12, v219
	v_fma_f16 v222, v254, s12, v222
	v_pack_b32_f16 v4, v4, v5
	v_pack_b32_f16 v5, v6, v7
	ds_write2_b32 v156, v4, v5 offset0:100 offset1:149
	v_sub_f16_e32 v4, v240, v244
	v_add_f16_e32 v5, v242, v241
	v_sub_f16_e32 v6, v232, v222
	v_add_f16_e32 v7, v219, v230
	v_pack_b32_f16 v4, v4, v5
	v_pack_b32_f16 v5, v6, v7
	ds_write2_b32 v209, v4, v5 offset0:59 offset1:108
	v_lshrrev_b32_e32 v4, 16, v243
	v_pack_b32_f16 v85, v85, v86
	ds_write2_b32 v175, v84, v85 offset0:54 offset1:103
	v_add_f16_e32 v164, v222, v232
	v_sub_f16_e32 v226, v230, v219
	v_pack_b32_f16 v164, v164, v226
	ds_write2_b32 v159, v246, v164 offset0:136 offset1:185
	v_lshl_add_u64 v[80:81], v[76:77], 0, s[10:11]
	s_mov_b64 s[10:11], 0x930
	s_waitcnt vmcnt(1)
	v_mul_f16_sdwa v6, v243, v65 dst_sel:DWORD dst_unused:UNUSED_PAD src0_sel:DWORD src1_sel:WORD_1
	v_mul_f16_sdwa v5, v4, v65 dst_sel:DWORD dst_unused:UNUSED_PAD src0_sel:DWORD src1_sel:WORD_1
	v_fma_f16 v4, v4, v65, v6
	v_lshrrev_b32_e32 v6, 16, v245
	v_mul_f16_sdwa v68, v245, v67 dst_sel:DWORD dst_unused:UNUSED_PAD src0_sel:DWORD src1_sel:WORD_1
	v_mul_f16_sdwa v7, v6, v67 dst_sel:DWORD dst_unused:UNUSED_PAD src0_sel:DWORD src1_sel:WORD_1
	v_fma_f16 v6, v6, v67, v68
	v_lshrrev_b32_e32 v68, 16, v247
	s_waitcnt vmcnt(0)
	v_mul_f16_sdwa v69, v68, v125 dst_sel:DWORD dst_unused:UNUSED_PAD src0_sel:DWORD src1_sel:WORD_1
	v_fma_f16 v82, v247, v125, -v69
	v_mul_f16_sdwa v69, v247, v125 dst_sel:DWORD dst_unused:UNUSED_PAD src0_sel:DWORD src1_sel:WORD_1
	v_fma_f16 v83, v68, v125, v69
	v_lshlrev_b32_e32 v68, 16, v70
	s_waitcnt lgkmcnt(14)
	v_lshrrev_b32_e32 v69, 16, v126
	v_mul_f16_sdwa v70, v126, v64 dst_sel:DWORD dst_unused:UNUSED_PAD src0_sel:DWORD src1_sel:WORD_1
	v_fma_f16 v84, v69, v64, v70
	v_mul_f16_sdwa v69, v69, v64 dst_sel:DWORD dst_unused:UNUSED_PAD src0_sel:DWORD src1_sel:WORD_1
	v_fma_f16 v85, v126, v64, -v69
	v_lshrrev_b32_e32 v69, 16, v74
	v_mul_f16_sdwa v70, v74, v66 dst_sel:DWORD dst_unused:UNUSED_PAD src0_sel:DWORD src1_sel:WORD_1
	v_fma_f16 v86, v69, v66, v70
	v_mul_f16_sdwa v69, v69, v66 dst_sel:DWORD dst_unused:UNUSED_PAD src0_sel:DWORD src1_sel:WORD_1
	v_fma_f16 v74, v74, v66, -v69
	;; [unrolled: 5-line block ×3, first 2 shown]
	v_fma_f16 v72, v72, v124, -v69
	v_fma_f16 v7, v245, v67, -v7
	v_add_f16_e32 v92, v85, v82
	v_add_f16_e32 v93, v5, v72
	;; [unrolled: 1-line block ×9, first 2 shown]
	v_or_b32_e32 v68, v68, v160
	v_add_f16_e32 v160, v135, v69
	v_add_f16_sdwa v210, v160, v71 dst_sel:DWORD dst_unused:UNUSED_PAD src0_sel:DWORD src1_sel:WORD_1
	v_add_f16_e32 v164, v128, v71
	v_lshlrev_b32_e32 v69, 16, v210
	v_or_b32_e32 v69, v69, v164
	ds_write2_b32 v96, v68, v69 offset0:98 offset1:147
	global_load_dwordx4 v[68:71], v[80:81], off offset:3696
	v_lshrrev_b32_e32 v126, 16, v127
	v_sub_f16_e32 v5, v5, v72
	v_sub_f16_e32 v4, v4, v87
	v_fma_f16 v72, v128, s6, v164
	s_waitcnt lgkmcnt(13)
	v_lshrrev_b32_e32 v87, 16, v146
	v_sub_f16_e32 v7, v7, v74
	v_sub_f16_e32 v6, v6, v86
	v_fma_f16 v74, v160, s6, v210
	v_sub_f16_e32 v164, v129, v135
	v_sub_f16_e32 v135, v135, v131
	v_add_f16_e32 v210, v7, v5
	v_mul_f16_e32 v164, 0x3a52, v164
	v_fma_f16 v226, v135, s8, v164
	v_add_f16_e32 v226, v226, v74
	s_waitcnt vmcnt(0)
	v_mul_f16_sdwa v212, v126, v68 dst_sel:DWORD dst_unused:UNUSED_PAD src0_sel:DWORD src1_sel:WORD_1
	v_fma_f16 v212, v127, v68, -v212
	v_mul_f16_sdwa v127, v127, v68 dst_sel:DWORD dst_unused:UNUSED_PAD src0_sel:DWORD src1_sel:WORD_1
	v_fma_f16 v213, v126, v68, v127
	v_lshrrev_b32_e32 v126, 16, v75
	v_mul_f16_sdwa v127, v126, v70 dst_sel:DWORD dst_unused:UNUSED_PAD src0_sel:DWORD src1_sel:WORD_1
	v_fma_f16 v219, v75, v70, -v127
	v_mul_f16_sdwa v75, v75, v70 dst_sel:DWORD dst_unused:UNUSED_PAD src0_sel:DWORD src1_sel:WORD_1
	v_fma_f16 v75, v126, v70, v75
	global_load_dwordx2 v[126:127], v[80:81], off offset:3712
	v_lshrrev_b32_e32 v80, 16, v73
	v_mul_f16_sdwa v128, v146, v69 dst_sel:DWORD dst_unused:UNUSED_PAD src0_sel:DWORD src1_sel:WORD_1
	v_fma_f16 v128, v87, v69, v128
	v_mul_f16_sdwa v87, v87, v69 dst_sel:DWORD dst_unused:UNUSED_PAD src0_sel:DWORD src1_sel:WORD_1
	v_fma_f16 v87, v146, v69, -v87
	s_waitcnt lgkmcnt(12)
	v_mul_f16_sdwa v146, v144, v71 dst_sel:DWORD dst_unused:UNUSED_PAD src0_sel:DWORD src1_sel:WORD_1
	s_waitcnt vmcnt(0)
	v_mul_f16_sdwa v81, v80, v126 dst_sel:DWORD dst_unused:UNUSED_PAD src0_sel:DWORD src1_sel:WORD_1
	v_fma_f16 v81, v73, v126, -v81
	v_mul_f16_sdwa v73, v73, v126 dst_sel:DWORD dst_unused:UNUSED_PAD src0_sel:DWORD src1_sel:WORD_1
	v_fma_f16 v73, v80, v126, v73
	v_sub_f16_e32 v80, v85, v82
	v_sub_f16_e32 v82, v84, v83
	s_waitcnt lgkmcnt(11)
	v_lshrrev_b32_e32 v83, 16, v142
	v_mul_f16_sdwa v84, v142, v127 dst_sel:DWORD dst_unused:UNUSED_PAD src0_sel:DWORD src1_sel:WORD_1
	v_fma_f16 v84, v83, v127, v84
	v_mul_f16_sdwa v83, v83, v127 dst_sel:DWORD dst_unused:UNUSED_PAD src0_sel:DWORD src1_sel:WORD_1
	v_fma_f16 v83, v142, v127, -v83
	v_add_f16_e32 v142, v87, v81
	v_sub_f16_e32 v81, v87, v81
	v_add_f16_e32 v87, v128, v73
	v_sub_f16_e32 v73, v128, v73
	v_lshrrev_b32_e32 v128, 16, v144
	v_fma_f16 v146, v128, v71, v146
	v_mul_f16_sdwa v128, v128, v71 dst_sel:DWORD dst_unused:UNUSED_PAD src0_sel:DWORD src1_sel:WORD_1
	v_fma_f16 v128, v144, v71, -v128
	v_add_f16_e32 v85, v212, v83
	v_sub_f16_e32 v83, v212, v83
	v_add_f16_e32 v144, v219, v128
	v_sub_f16_e32 v128, v128, v219
	;; [unrolled: 2-line block ×3, first 2 shown]
	v_sub_f16_e32 v146, v92, v94
	v_sub_f16_e32 v212, v7, v5
	v_sub_f16_e32 v219, v6, v4
	v_add_f16_e32 v86, v213, v84
	v_sub_f16_e32 v84, v213, v84
	v_sub_f16_e32 v94, v94, v93
	;; [unrolled: 1-line block ×3, first 2 shown]
	v_add_f16_e32 v213, v6, v4
	v_sub_f16_e32 v6, v82, v6
	v_mul_f16_e32 v146, 0x3a52, v146
	v_mul_f16_e32 v212, 0xb846, v212
	;; [unrolled: 1-line block ×3, first 2 shown]
	v_add_f16_e32 v210, v210, v80
	v_add_f16_e32 v213, v213, v82
	v_fma_f16 v222, v94, s8, v146
	v_fma_f16 v230, v7, s7, v212
	;; [unrolled: 1-line block ×3, first 2 shown]
	v_sub_f16_e32 v5, v5, v80
	v_add_f16_e32 v222, v222, v72
	v_fma_f16 v230, v210, s12, v230
	v_fma_f16 v232, v213, s12, v232
	v_add_f16_e32 v244, v75, v73
	v_sub_f16_e32 v245, v75, v73
	v_sub_f16_e32 v4, v4, v82
	v_mul_f16_e32 v80, 0xbb00, v5
	v_sub_f16_e32 v73, v73, v84
	v_add_f16_e32 v237, v232, v222
	v_sub_f16_e32 v238, v226, v230
	v_sub_f16_e32 v75, v84, v75
	v_add_f16_e32 v244, v244, v84
	v_mul_f16_e32 v245, 0xb846, v245
	v_sub_f16_e32 v92, v93, v92
	v_sub_f16_e32 v93, v131, v129
	v_fma_f16 v7, v7, s2, v80
	v_mul_f16_e32 v80, 0xbb00, v4
	v_mul_f16_e32 v84, 0xbb00, v73
	v_pack_b32_f16 v237, v237, v238
	v_add_f16_e32 v238, v142, v85
	v_sub_f16_e32 v239, v85, v144
	v_add_f16_e32 v240, v87, v86
	v_fma_f16 v250, v75, s7, v245
	v_fma_f16 v6, v6, s2, v80
	v_sub_f16_e32 v80, v142, v85
	v_fma_f16 v75, v75, s2, v84
	v_fma_f16 v84, v92, s3, -v146
	v_fma_f16 v85, v93, s3, -v164
	v_add_f16_e32 v238, v144, v238
	v_add_f16_e32 v240, v160, v240
	v_sub_f16_e32 v241, v86, v160
	v_add_f16_e32 v242, v128, v81
	v_sub_f16_e32 v243, v128, v81
	v_sub_f16_e32 v81, v81, v83
	v_add_f16_e32 v84, v84, v72
	v_add_f16_e32 v85, v85, v74
	v_fma_f16 v7, v210, s12, v7
	v_fma_f16 v6, v213, s12, v6
	v_sub_f16_e32 v160, v160, v87
	v_sub_f16_e32 v128, v83, v128
	v_add_f16_e32 v242, v242, v83
	v_mul_f16_e32 v239, 0x3a52, v239
	v_mul_f16_e32 v241, 0x3a52, v241
	v_mul_f16_e32 v243, 0xb846, v243
	v_add_f16_e32 v246, v238, v78
	v_add_f16_sdwa v78, v240, v78 dst_sel:DWORD dst_unused:UNUSED_PAD src0_sel:DWORD src1_sel:WORD_1
	v_sub_f16_e32 v82, v87, v86
	v_mul_f16_e32 v83, 0xbb00, v81
	v_add_f16_e32 v86, v6, v84
	v_sub_f16_e32 v87, v85, v7
	v_fma_f16 v238, v238, s6, v246
	v_fma_f16 v240, v240, s6, v78
	;; [unrolled: 1-line block ×4, first 2 shown]
	v_pack_b32_f16 v86, v86, v87
	v_fma_f16 v87, v80, s3, -v239
	v_fma_f16 v128, v82, s3, -v241
	v_add_f16_e32 v87, v87, v238
	v_add_f16_e32 v128, v128, v240
	v_fma_f16 v83, v242, s12, v83
	v_fma_f16 v75, v244, s12, v75
	v_add_f16_e32 v129, v75, v87
	v_sub_f16_e32 v131, v128, v83
	v_pack_b32_f16 v129, v129, v131
	ds_write2_b32 v161, v86, v129 offset0:65 offset1:114
	v_mul_f16_e32 v86, 0x2b26, v94
	v_sub_f16_e32 v144, v144, v142
	v_fma_f16 v86, v92, s9, -v86
	v_mul_f16_e32 v92, 0x2b26, v135
	v_add_f16_e32 v72, v86, v72
	v_mul_f16_e32 v86, 0x2b26, v144
	v_fma_f16 v92, v93, s9, -v92
	v_fma_f16 v5, v5, s13, -v212
	;; [unrolled: 1-line block ×4, first 2 shown]
	v_mul_f16_e32 v86, 0x2b26, v160
	v_add_f16_e32 v74, v92, v74
	v_fma_f16 v5, v210, s12, v5
	v_fma_f16 v4, v213, s12, v4
	v_fma_f16 v82, v82, s9, -v86
	v_fma_f16 v81, v81, s13, -v243
	;; [unrolled: 1-line block ×3, first 2 shown]
	v_add_f16_e32 v80, v80, v238
	v_add_f16_e32 v82, v82, v240
	v_fma_f16 v81, v242, s12, v81
	v_fma_f16 v73, v244, s12, v73
	v_sub_f16_e32 v86, v72, v4
	v_add_f16_e32 v92, v5, v74
	v_fma_f16 v247, v144, s8, v239
	v_fma_f16 v248, v160, s8, v241
	v_pack_b32_f16 v86, v86, v92
	v_sub_f16_e32 v92, v80, v73
	v_add_f16_e32 v4, v4, v72
	v_sub_f16_e32 v5, v74, v5
	v_add_f16_e32 v72, v73, v80
	;; [unrolled: 2-line block ×3, first 2 shown]
	v_add_f16_e32 v248, v248, v240
	v_fma_f16 v249, v242, s12, v249
	v_fma_f16 v250, v244, s12, v250
	v_pack_b32_f16 v4, v4, v5
	v_pack_b32_f16 v5, v72, v73
	v_add_f16_e32 v251, v250, v247
	v_sub_f16_e32 v252, v248, v249
	v_add_f16_e32 v93, v81, v82
	ds_write2_b32 v162, v4, v5 offset0:111 offset1:160
	v_sub_f16_e32 v4, v84, v6
	v_add_f16_e32 v5, v7, v85
	v_sub_f16_e32 v6, v87, v75
	v_add_f16_e32 v7, v83, v128
	v_pack_b32_f16 v251, v251, v252
	v_pack_b32_f16 v92, v92, v93
	;; [unrolled: 1-line block ×4, first 2 shown]
	ds_write2_b32 v173, v237, v251 offset0:106 offset1:155
	ds_write2_b32 v175, v86, v92 offset0:152 offset1:201
	;; [unrolled: 1-line block ×3, first 2 shown]
	v_lshl_add_u64 v[80:81], v[76:77], 0, s[10:11]
	global_load_dwordx4 v[72:75], v[80:81], off offset:3696
	global_load_dwordx2 v[128:129], v[80:81], off offset:3712
	v_sub_f16_e32 v4, v222, v232
	v_add_f16_e32 v5, v230, v226
	v_sub_f16_e32 v6, v247, v250
	v_add_f16_e32 v7, v249, v248
	v_pack_b32_f16 v4, v4, v5
	v_pack_b32_f16 v5, v6, v7
	ds_write2_b32 v209, v4, v5 offset0:157 offset1:206
	v_lshrrev_b32_e32 v4, 16, v147
	v_lshlrev_b32_e32 v78, 16, v78
	s_mov_b64 s[10:11], 0xdc8
	v_or_b32_e32 v78, v78, v246
	s_waitcnt lgkmcnt(14)
	v_lshrrev_b32_e32 v131, 16, v141
	s_waitcnt vmcnt(1)
	v_mul_f16_sdwa v6, v147, v73 dst_sel:DWORD dst_unused:UNUSED_PAD src0_sel:DWORD src1_sel:WORD_1
	v_mul_f16_sdwa v5, v4, v73 dst_sel:DWORD dst_unused:UNUSED_PAD src0_sel:DWORD src1_sel:WORD_1
	v_fma_f16 v4, v4, v73, v6
	v_lshrrev_b32_e32 v6, 16, v145
	v_mul_f16_sdwa v80, v145, v75 dst_sel:DWORD dst_unused:UNUSED_PAD src0_sel:DWORD src1_sel:WORD_1
	v_mul_f16_sdwa v7, v6, v75 dst_sel:DWORD dst_unused:UNUSED_PAD src0_sel:DWORD src1_sel:WORD_1
	v_fma_f16 v6, v6, v75, v80
	v_lshrrev_b32_e32 v80, 16, v143
	s_waitcnt vmcnt(0)
	v_mul_f16_sdwa v81, v80, v129 dst_sel:DWORD dst_unused:UNUSED_PAD src0_sel:DWORD src1_sel:WORD_1
	v_fma_f16 v82, v143, v129, -v81
	v_mul_f16_sdwa v81, v143, v129 dst_sel:DWORD dst_unused:UNUSED_PAD src0_sel:DWORD src1_sel:WORD_1
	v_fma_f16 v83, v80, v129, v81
	v_lshrrev_b32_e32 v80, 16, v140
	v_mul_f16_sdwa v81, v140, v72 dst_sel:DWORD dst_unused:UNUSED_PAD src0_sel:DWORD src1_sel:WORD_1
	v_fma_f16 v84, v80, v72, v81
	v_mul_f16_sdwa v80, v80, v72 dst_sel:DWORD dst_unused:UNUSED_PAD src0_sel:DWORD src1_sel:WORD_1
	v_fma_f16 v85, v140, v72, -v80
	v_lshrrev_b32_e32 v80, 16, v138
	v_mul_f16_sdwa v81, v138, v74 dst_sel:DWORD dst_unused:UNUSED_PAD src0_sel:DWORD src1_sel:WORD_1
	v_fma_f16 v86, v80, v74, v81
	v_mul_f16_sdwa v80, v80, v74 dst_sel:DWORD dst_unused:UNUSED_PAD src0_sel:DWORD src1_sel:WORD_1
	v_fma_f16 v87, v138, v74, -v80
	;; [unrolled: 5-line block ×3, first 2 shown]
	v_fma_f16 v93, v136, v128, -v80
	v_fma_f16 v7, v145, v75, -v7
	v_add_f16_e32 v94, v85, v82
	v_add_f16_e32 v135, v5, v93
	v_add_f16_e32 v136, v87, v7
	v_add_f16_e32 v80, v135, v94
	v_add_f16_e32 v140, v84, v83
	v_add_f16_e32 v142, v4, v92
	v_add_f16_e32 v138, v136, v80
	v_add_f16_e32 v143, v86, v6
	v_add_f16_e32 v80, v142, v140
	v_add_f16_e32 v144, v143, v80
	v_add_f16_sdwa v146, v144, v79 dst_sel:DWORD dst_unused:UNUSED_PAD src0_sel:DWORD src1_sel:WORD_1
	v_add_f16_e32 v145, v138, v79
	v_lshlrev_b32_e32 v79, 16, v146
	v_or_b32_e32 v79, v79, v145
	v_lshl_add_u64 v[80:81], v[76:77], 0, s[10:11]
	ds_write2_b32 v96, v78, v79 offset0:196 offset1:245
	global_load_dwordx4 v[76:79], v[80:81], off offset:3696
	v_sub_f16_e32 v5, v5, v93
	v_sub_f16_e32 v4, v4, v92
	;; [unrolled: 1-line block ×6, first 2 shown]
	v_fma_f16 v84, v138, s6, v145
	v_fma_f16 v85, v144, s6, v146
	s_mov_b64 s[10:11], 0x2584
	s_waitcnt vmcnt(0)
	v_mul_f16_sdwa v147, v131, v76 dst_sel:DWORD dst_unused:UNUSED_PAD src0_sel:DWORD src1_sel:WORD_1
	v_fma_f16 v147, v141, v76, -v147
	v_mul_f16_sdwa v141, v141, v76 dst_sel:DWORD dst_unused:UNUSED_PAD src0_sel:DWORD src1_sel:WORD_1
	v_fma_f16 v141, v131, v76, v141
	v_lshrrev_b32_e32 v131, 16, v134
	v_mul_f16_sdwa v160, v131, v77 dst_sel:DWORD dst_unused:UNUSED_PAD src0_sel:DWORD src1_sel:WORD_1
	v_fma_f16 v160, v134, v77, -v160
	v_mul_f16_sdwa v134, v134, v77 dst_sel:DWORD dst_unused:UNUSED_PAD src0_sel:DWORD src1_sel:WORD_1
	v_fma_f16 v134, v131, v77, v134
	v_lshrrev_b32_e32 v131, 16, v139
	;; [unrolled: 5-line block ×3, first 2 shown]
	v_mul_f16_sdwa v210, v131, v79 dst_sel:DWORD dst_unused:UNUSED_PAD src0_sel:DWORD src1_sel:WORD_1
	v_fma_f16 v210, v130, v79, -v210
	v_mul_f16_sdwa v130, v130, v79 dst_sel:DWORD dst_unused:UNUSED_PAD src0_sel:DWORD src1_sel:WORD_1
	v_fma_f16 v212, v131, v79, v130
	global_load_dwordx2 v[130:131], v[80:81], off offset:3712
	v_lshrrev_b32_e32 v80, 16, v137
	v_sub_f16_e32 v138, v210, v164
	s_waitcnt vmcnt(0)
	v_mul_f16_sdwa v81, v80, v130 dst_sel:DWORD dst_unused:UNUSED_PAD src0_sel:DWORD src1_sel:WORD_1
	v_fma_f16 v81, v137, v130, -v81
	v_mul_f16_sdwa v137, v137, v130 dst_sel:DWORD dst_unused:UNUSED_PAD src0_sel:DWORD src1_sel:WORD_1
	v_fma_f16 v80, v80, v130, v137
	v_lshrrev_b32_e32 v137, 16, v133
	v_mul_f16_sdwa v213, v137, v131 dst_sel:DWORD dst_unused:UNUSED_PAD src0_sel:DWORD src1_sel:WORD_1
	v_fma_f16 v213, v133, v131, -v213
	v_mul_f16_sdwa v133, v133, v131 dst_sel:DWORD dst_unused:UNUSED_PAD src0_sel:DWORD src1_sel:WORD_1
	v_fma_f16 v133, v137, v131, v133
	v_add_f16_e32 v86, v147, v213
	v_sub_f16_e32 v87, v147, v213
	v_add_f16_e32 v92, v141, v133
	v_sub_f16_e32 v93, v141, v133
	;; [unrolled: 2-line block ×5, first 2 shown]
	v_sub_f16_e32 v160, v140, v143
	v_sub_f16_e32 v210, v7, v5
	v_sub_f16_e32 v213, v6, v4
	v_add_f16_e32 v141, v139, v212
	v_sub_f16_e32 v139, v212, v139
	v_sub_f16_e32 v136, v136, v135
	;; [unrolled: 1-line block ×3, first 2 shown]
	v_add_f16_e32 v164, v7, v5
	v_sub_f16_e32 v7, v82, v7
	v_add_f16_e32 v212, v6, v4
	v_sub_f16_e32 v6, v83, v6
	v_mul_f16_e32 v147, 0x3a52, v147
	v_mul_f16_e32 v160, 0x3a52, v160
	;; [unrolled: 1-line block ×4, first 2 shown]
	v_sub_f16_e32 v5, v5, v82
	v_add_f16_e32 v164, v164, v82
	v_add_f16_e32 v212, v212, v83
	v_fma_f16 v219, v136, s8, v147
	v_fma_f16 v222, v143, s8, v160
	;; [unrolled: 1-line block ×4, first 2 shown]
	v_sub_f16_e32 v4, v4, v83
	v_mul_f16_e32 v82, 0xbb00, v5
	v_add_f16_e32 v219, v219, v84
	v_add_f16_e32 v222, v222, v85
	v_fma_f16 v226, v164, s12, v226
	v_fma_f16 v230, v212, s12, v230
	v_add_f16_e32 v241, v139, v80
	v_sub_f16_e32 v94, v135, v94
	v_sub_f16_e32 v135, v142, v140
	v_fma_f16 v7, v7, s2, v82
	v_mul_f16_e32 v82, 0xbb00, v4
	v_add_f16_e32 v144, v133, v86
	v_add_f16_e32 v145, v137, v92
	;; [unrolled: 1-line block ×3, first 2 shown]
	v_sub_f16_e32 v237, v222, v226
	v_sub_f16_e32 v238, v92, v141
	;; [unrolled: 1-line block ×4, first 2 shown]
	v_add_f16_e32 v241, v241, v93
	v_fma_f16 v6, v6, s2, v82
	v_sub_f16_e32 v83, v137, v92
	v_sub_f16_e32 v80, v80, v93
	v_fma_f16 v92, v94, s3, -v147
	v_fma_f16 v93, v135, s3, -v160
	v_add_f16_e32 v144, v134, v144
	v_add_f16_e32 v145, v141, v145
	v_pack_b32_f16 v232, v232, v237
	v_sub_f16_e32 v237, v86, v134
	v_add_f16_e32 v239, v138, v81
	v_sub_f16_e32 v240, v138, v81
	v_sub_f16_e32 v81, v81, v87
	v_add_f16_e32 v92, v92, v84
	v_add_f16_e32 v93, v93, v85
	v_fma_f16 v7, v164, s12, v7
	v_fma_f16 v6, v212, s12, v6
	v_add_f16_e32 v146, v144, v132
	v_add_f16_sdwa v132, v145, v132 dst_sel:DWORD dst_unused:UNUSED_PAD src0_sel:DWORD src1_sel:WORD_1
	v_sub_f16_e32 v134, v134, v133
	v_sub_f16_e32 v141, v141, v137
	;; [unrolled: 1-line block ×3, first 2 shown]
	v_add_f16_e32 v239, v239, v87
	v_mul_f16_e32 v237, 0x3a52, v237
	v_mul_f16_e32 v238, 0x3a52, v238
	;; [unrolled: 1-line block ×3, first 2 shown]
	v_sub_f16_e32 v82, v133, v86
	v_mul_f16_e32 v86, 0xbb00, v81
	v_mul_f16_e32 v87, 0xbb00, v80
	v_add_f16_e32 v133, v6, v92
	v_sub_f16_e32 v137, v93, v7
	v_fma_f16 v144, v144, s6, v146
	v_fma_f16 v145, v145, s6, v132
	;; [unrolled: 1-line block ×5, first 2 shown]
	v_pack_b32_f16 v133, v133, v137
	v_fma_f16 v137, v82, s3, -v237
	v_fma_f16 v138, v83, s3, -v238
	v_mul_f16_e32 v242, 0xb846, v242
	v_add_f16_e32 v137, v137, v144
	v_add_f16_e32 v138, v138, v145
	v_fma_f16 v86, v239, s12, v86
	v_fma_f16 v87, v241, s12, v87
	;; [unrolled: 1-line block ×3, first 2 shown]
	v_add_f16_e32 v139, v87, v137
	v_sub_f16_e32 v140, v138, v86
	v_pack_b32_f16 v139, v139, v140
	ds_write2_b32 v161, v133, v139 offset0:163 offset1:212
	v_mul_f16_e32 v133, 0x2b26, v136
	v_fma_f16 v94, v94, s9, -v133
	v_mul_f16_e32 v133, 0x2b26, v143
	v_add_f16_e32 v84, v94, v84
	v_mul_f16_e32 v94, 0x2b26, v134
	v_fma_f16 v133, v135, s9, -v133
	v_fma_f16 v5, v5, s13, -v210
	;; [unrolled: 1-line block ×4, first 2 shown]
	v_mul_f16_e32 v94, 0x2b26, v141
	v_add_f16_e32 v85, v133, v85
	v_fma_f16 v5, v164, s12, v5
	v_fma_f16 v4, v212, s12, v4
	v_fma_f16 v83, v83, s9, -v94
	v_fma_f16 v81, v81, s13, -v240
	;; [unrolled: 1-line block ×3, first 2 shown]
	v_add_f16_e32 v82, v82, v144
	v_add_f16_e32 v83, v83, v145
	v_fma_f16 v81, v239, s12, v81
	v_fma_f16 v80, v241, s12, v80
	v_sub_f16_e32 v94, v84, v4
	v_add_f16_e32 v133, v5, v85
	v_fma_f16 v243, v134, s8, v237
	v_pack_b32_f16 v94, v94, v133
	v_sub_f16_e32 v133, v82, v80
	v_add_f16_e32 v134, v81, v83
	v_add_f16_e32 v4, v4, v84
	v_sub_f16_e32 v5, v85, v5
	v_add_f16_e32 v80, v80, v82
	v_sub_f16_e32 v81, v83, v81
	v_pack_b32_f16 v4, v4, v5
	v_pack_b32_f16 v5, v80, v81
	v_fma_f16 v244, v141, s8, v238
	ds_write2_b32 v165, v4, v5 offset0:81 offset1:130
	v_sub_f16_e32 v4, v92, v6
	v_add_f16_e32 v5, v7, v93
	v_sub_f16_e32 v6, v137, v87
	v_add_f16_e32 v7, v86, v138
	v_add_f16_e32 v243, v243, v144
	v_add_f16_e32 v244, v244, v145
	v_fma_f16 v245, v239, s12, v245
	v_fma_f16 v246, v241, s12, v246
	v_pack_b32_f16 v4, v4, v5
	v_pack_b32_f16 v5, v6, v7
	ds_write2_b32 v191, v4, v5 offset0:168 offset1:217
	v_sub_f16_e32 v4, v219, v230
	v_add_f16_e32 v5, v226, v222
	v_sub_f16_e32 v6, v243, v246
	v_add_f16_e32 v7, v245, v244
	v_pack_b32_f16 v4, v4, v5
	v_pack_b32_f16 v5, v6, v7
	v_add_f16_e32 v247, v246, v243
	v_sub_f16_e32 v248, v244, v245
	ds_write2_b32 v157, v4, v5 offset0:127 offset1:176
	v_lshlrev_b32_e32 v4, 16, v132
	v_pack_b32_f16 v247, v247, v248
	v_pack_b32_f16 v133, v133, v134
	v_or_b32_e32 v4, v4, v146
	ds_write2_b32 v207, v232, v247 offset0:76 offset1:125
	ds_write2_b32 v152, v94, v133 offset0:122 offset1:171
	ds_write_b32 v96, v4 offset:1176
	s_waitcnt lgkmcnt(0)
	; wave barrier
	s_waitcnt lgkmcnt(0)
	global_load_dword v80, v[100:101], off offset:1412
	v_lshl_add_u64 v[100:101], v[88:89], 0, s[10:11]
	global_load_dword v4, v[100:101], off offset:980
	global_load_dword v5, v[100:101], off offset:1176
	s_movk_i32 s10, 0x4000
	v_add_co_u32_e32 v132, vcc, s10, v88
	s_movk_i32 s10, 0x3000
	s_nop 0
	v_addc_co_u32_e32 v133, vcc, 0, v89, vcc
	global_load_dword v6, v[132:133], off offset:1452
	global_load_dword v239, v[132:133], off offset:1648
	;; [unrolled: 1-line block ×7, first 2 shown]
	ds_read2_b32 v[140:141], v96 offset1:49
	global_load_dword v81, v[100:101], off offset:196
	global_load_dword v240, v[100:101], off offset:392
	global_load_dword v238, v[100:101], off offset:588
	global_load_dword v7, v[100:101], off offset:1372
	global_load_dword v237, v[100:101], off offset:784
	s_mov_b32 s11, 0xbb00
	s_waitcnt lgkmcnt(0)
	v_lshrrev_b32_e32 v83, 16, v140
	s_waitcnt vmcnt(14)
	v_mul_f16_sdwa v84, v140, v80 dst_sel:DWORD dst_unused:UNUSED_PAD src0_sel:DWORD src1_sel:WORD_1
	v_fma_f16 v84, v83, v80, v84
	v_mul_f16_sdwa v83, v83, v80 dst_sel:DWORD dst_unused:UNUSED_PAD src0_sel:DWORD src1_sel:WORD_1
	v_fma_f16 v80, v140, v80, -v83
	v_pack_b32_f16 v80, v80, v84
	ds_write_b32 v96, v80
	ds_read2_b32 v[136:137], v96 offset0:196 offset1:245
	ds_read2_b32 v[142:143], v159 offset0:38 offset1:87
	;; [unrolled: 1-line block ×4, first 2 shown]
	global_load_dword v84, v[100:101], off offset:1568
	s_waitcnt lgkmcnt(3)
	v_lshrrev_b32_e32 v80, 16, v137
	s_waitcnt vmcnt(14)
	v_mul_f16_sdwa v83, v137, v4 dst_sel:DWORD dst_unused:UNUSED_PAD src0_sel:DWORD src1_sel:WORD_1
	v_fma_f16 v83, v80, v4, v83
	v_mul_f16_sdwa v80, v80, v4 dst_sel:DWORD dst_unused:UNUSED_PAD src0_sel:DWORD src1_sel:WORD_1
	v_fma_f16 v4, v137, v4, -v80
	v_pack_b32_f16 v4, v4, v83
	s_waitcnt lgkmcnt(2)
	v_lshrrev_b32_e32 v80, 16, v142
	s_waitcnt vmcnt(13)
	v_mul_f16_sdwa v83, v142, v5 dst_sel:DWORD dst_unused:UNUSED_PAD src0_sel:DWORD src1_sel:WORD_1
	v_fma_f16 v83, v80, v5, v83
	v_mul_f16_sdwa v80, v80, v5 dst_sel:DWORD dst_unused:UNUSED_PAD src0_sel:DWORD src1_sel:WORD_1
	v_fma_f16 v5, v142, v5, -v80
	v_pack_b32_f16 v5, v5, v83
	v_add_u32_e32 v80, 0x200, v96
	ds_write2_b32 v80, v4, v5 offset0:117 offset1:166
	s_waitcnt lgkmcnt(2)
	v_lshrrev_b32_e32 v4, 16, v138
	s_waitcnt vmcnt(12)
	v_mul_f16_sdwa v5, v138, v6 dst_sel:DWORD dst_unused:UNUSED_PAD src0_sel:DWORD src1_sel:WORD_1
	v_fma_f16 v5, v4, v6, v5
	v_mul_f16_sdwa v4, v4, v6 dst_sel:DWORD dst_unused:UNUSED_PAD src0_sel:DWORD src1_sel:WORD_1
	v_fma_f16 v4, v138, v6, -v4
	v_pack_b32_f16 v4, v4, v5
	s_waitcnt lgkmcnt(1)
	v_lshrrev_b32_e32 v5, 16, v135
	s_waitcnt vmcnt(6)
	v_mul_f16_sdwa v80, v135, v82 dst_sel:DWORD dst_unused:UNUSED_PAD src0_sel:DWORD src1_sel:WORD_1
	v_fma_f16 v80, v5, v82, v80
	v_mul_f16_sdwa v5, v5, v82 dst_sel:DWORD dst_unused:UNUSED_PAD src0_sel:DWORD src1_sel:WORD_1
	v_fma_f16 v5, v135, v82, -v5
	v_pack_b32_f16 v5, v5, v80
	v_add_u32_e32 v80, 0x1e00, v96
	global_load_dword v6, v[132:133], off offset:1060
	ds_write2_b32 v80, v5, v4 offset0:89 offset1:138
	global_load_dword v4, v[100:101], off offset:2744
	v_lshrrev_b32_e32 v5, 16, v143
	s_waitcnt vmcnt(4)
	v_mul_f16_sdwa v80, v5, v7 dst_sel:DWORD dst_unused:UNUSED_PAD src0_sel:DWORD src1_sel:WORD_1
	v_mul_f16_sdwa v82, v143, v7 dst_sel:DWORD dst_unused:UNUSED_PAD src0_sel:DWORD src1_sel:WORD_1
	v_fma_f16 v80, v143, v7, -v80
	v_fma_f16 v5, v5, v7, v82
	v_lshrrev_b32_e32 v7, 16, v141
	v_mul_f16_sdwa v85, v7, v81 dst_sel:DWORD dst_unused:UNUSED_PAD src0_sel:DWORD src1_sel:WORD_1
	v_fma_f16 v92, v141, v81, -v85
	v_mul_f16_sdwa v85, v141, v81 dst_sel:DWORD dst_unused:UNUSED_PAD src0_sel:DWORD src1_sel:WORD_1
	v_fma_f16 v7, v7, v81, v85
	v_pack_b32_f16 v5, v80, v5
	global_load_dword v94, v[100:101], off offset:1764
	global_load_dword v135, v[100:101], off offset:1960
	;; [unrolled: 1-line block ×5, first 2 shown]
	ds_read2_b32 v[80:81], v159 offset0:136 offset1:185
	v_add_co_u32_e32 v82, vcc, s10, v88
	v_pack_b32_f16 v7, v92, v7
	s_nop 0
	v_addc_co_u32_e32 v83, vcc, 0, v89, vcc
	s_waitcnt lgkmcnt(0)
	v_lshrrev_b32_e32 v85, 16, v80
	s_mov_b32 s10, 0xb70e
	s_waitcnt vmcnt(7)
	v_mul_f16_sdwa v86, v80, v84 dst_sel:DWORD dst_unused:UNUSED_PAD src0_sel:DWORD src1_sel:WORD_1
	v_fma_f16 v86, v85, v84, v86
	v_mul_f16_sdwa v85, v85, v84 dst_sel:DWORD dst_unused:UNUSED_PAD src0_sel:DWORD src1_sel:WORD_1
	v_fma_f16 v80, v80, v84, -v85
	ds_read2_b32 v[84:85], v207 offset0:174 offset1:223
	v_pack_b32_f16 v80, v80, v86
	ds_write2_b32 v159, v5, v80 offset0:87 offset1:136
	s_waitcnt lgkmcnt(1)
	v_lshrrev_b32_e32 v5, 16, v84
	s_waitcnt vmcnt(5)
	v_mul_f16_sdwa v80, v84, v4 dst_sel:DWORD dst_unused:UNUSED_PAD src0_sel:DWORD src1_sel:WORD_1
	v_fma_f16 v143, v5, v4, v80
	v_mul_f16_sdwa v5, v5, v4 dst_sel:DWORD dst_unused:UNUSED_PAD src0_sel:DWORD src1_sel:WORD_1
	v_fma_f16 v4, v84, v4, -v5
	global_load_dword v5, v[100:101], off offset:2940
	v_lshrrev_b32_e32 v80, 16, v85
	v_pack_b32_f16 v4, v4, v143
	s_waitcnt vmcnt(0)
	v_mul_f16_sdwa v84, v80, v5 dst_sel:DWORD dst_unused:UNUSED_PAD src0_sel:DWORD src1_sel:WORD_1
	v_fma_f16 v160, v85, v5, -v84
	v_mul_f16_sdwa v84, v85, v5 dst_sel:DWORD dst_unused:UNUSED_PAD src0_sel:DWORD src1_sel:WORD_1
	v_fma_f16 v5, v80, v5, v84
	global_load_dword v80, v[82:83], off offset:1432
	global_load_dword v86, v[82:83], off offset:1628
	ds_read2_b32 v[88:89], v166 offset0:84 offset1:133
	global_load_dword v164, v[82:83], off offset:1824
	global_load_dword v210, v[100:101], off offset:3920
	v_pack_b32_f16 v5, v160, v5
	s_waitcnt lgkmcnt(0)
	v_lshrrev_b32_e32 v84, 16, v89
	s_waitcnt vmcnt(3)
	v_mul_f16_sdwa v85, v89, v80 dst_sel:DWORD dst_unused:UNUSED_PAD src0_sel:DWORD src1_sel:WORD_1
	v_fma_f16 v85, v84, v80, v85
	v_mul_f16_sdwa v84, v84, v80 dst_sel:DWORD dst_unused:UNUSED_PAD src0_sel:DWORD src1_sel:WORD_1
	v_fma_f16 v80, v89, v80, -v84
	v_pack_b32_f16 v80, v80, v85
	ds_read2_b32 v[84:85], v175 offset0:54 offset1:103
	s_waitcnt lgkmcnt(0)
	v_lshrrev_b32_e32 v87, 16, v84
	s_waitcnt vmcnt(2)
	v_mul_f16_sdwa v89, v84, v86 dst_sel:DWORD dst_unused:UNUSED_PAD src0_sel:DWORD src1_sel:WORD_1
	v_fma_f16 v89, v87, v86, v89
	v_mul_f16_sdwa v87, v87, v86 dst_sel:DWORD dst_unused:UNUSED_PAD src0_sel:DWORD src1_sel:WORD_1
	v_fma_f16 v84, v84, v86, -v87
	v_pack_b32_f16 v84, v84, v89
	ds_write2_b32 v175, v80, v84 offset0:5 offset1:54
	global_load_dword v80, v[82:83], off offset:2804
	global_load_dword v84, v[82:83], off offset:3000
	ds_read2_b32 v[86:87], v163 offset0:92 offset1:141
	global_load_dword v212, v[82:83], off offset:3196
	global_load_dword v213, v[82:83], off offset:3392
	;; [unrolled: 1-line block ×3, first 2 shown]
	s_waitcnt lgkmcnt(0)
	v_lshrrev_b32_e32 v89, 16, v86
	s_waitcnt vmcnt(4)
	v_mul_f16_sdwa v93, v86, v80 dst_sel:DWORD dst_unused:UNUSED_PAD src0_sel:DWORD src1_sel:WORD_1
	v_fma_f16 v222, v89, v80, v93
	v_mul_f16_sdwa v89, v89, v80 dst_sel:DWORD dst_unused:UNUSED_PAD src0_sel:DWORD src1_sel:WORD_1
	v_fma_f16 v89, v86, v80, -v89
	v_lshrrev_b32_e32 v80, 16, v87
	s_waitcnt vmcnt(3)
	v_mul_f16_sdwa v86, v80, v84 dst_sel:DWORD dst_unused:UNUSED_PAD src0_sel:DWORD src1_sel:WORD_1
	v_fma_f16 v226, v87, v84, -v86
	v_mul_f16_sdwa v86, v87, v84 dst_sel:DWORD dst_unused:UNUSED_PAD src0_sel:DWORD src1_sel:WORD_1
	v_fma_f16 v84, v80, v84, v86
	global_load_dword v80, v[132:133], off offset:80
	global_load_dword v93, v[132:133], off offset:276
	ds_read2_b32 v[140:141], v165 offset0:130 offset1:179
	global_load_dword v230, v[132:133], off offset:472
	global_load_dword v232, v[132:133], off offset:668
	;; [unrolled: 1-line block ×4, first 2 shown]
	s_waitcnt lgkmcnt(0)
	v_lshrrev_b32_e32 v86, 16, v141
	s_waitcnt vmcnt(5)
	v_mul_f16_sdwa v87, v141, v80 dst_sel:DWORD dst_unused:UNUSED_PAD src0_sel:DWORD src1_sel:WORD_1
	v_fma_f16 v87, v86, v80, v87
	v_mul_f16_sdwa v86, v86, v80 dst_sel:DWORD dst_unused:UNUSED_PAD src0_sel:DWORD src1_sel:WORD_1
	v_fma_f16 v80, v141, v80, -v86
	v_pack_b32_f16 v80, v80, v87
	ds_read2_b32 v[86:87], v156 offset0:100 offset1:149
	s_waitcnt lgkmcnt(0)
	v_lshrrev_b32_e32 v141, 16, v86
	s_waitcnt vmcnt(4)
	v_mul_f16_sdwa v243, v86, v93 dst_sel:DWORD dst_unused:UNUSED_PAD src0_sel:DWORD src1_sel:WORD_1
	v_fma_f16 v243, v141, v93, v243
	v_mul_f16_sdwa v141, v141, v93 dst_sel:DWORD dst_unused:UNUSED_PAD src0_sel:DWORD src1_sel:WORD_1
	v_fma_f16 v86, v86, v93, -v141
	v_pack_b32_f16 v86, v86, v243
	ds_write2_b32 v165, v80, v86 offset0:179 offset1:228
	v_lshrrev_b32_e32 v80, 16, v139
	v_mul_f16_sdwa v86, v80, v239 dst_sel:DWORD dst_unused:UNUSED_PAD src0_sel:DWORD src1_sel:WORD_1
	v_mul_f16_sdwa v93, v139, v239 dst_sel:DWORD dst_unused:UNUSED_PAD src0_sel:DWORD src1_sel:WORD_1
	v_fma_f16 v86, v139, v239, -v86
	v_fma_f16 v139, v80, v239, v93
	ds_read2_b32 v[92:93], v96 offset0:98 offset1:147
	s_waitcnt lgkmcnt(0)
	v_lshrrev_b32_e32 v80, 16, v92
	v_mul_f16_sdwa v141, v92, v240 dst_sel:DWORD dst_unused:UNUSED_PAD src0_sel:DWORD src1_sel:WORD_1
	v_fma_f16 v141, v80, v240, v141
	v_mul_f16_sdwa v80, v80, v240 dst_sel:DWORD dst_unused:UNUSED_PAD src0_sel:DWORD src1_sel:WORD_1
	v_fma_f16 v80, v92, v240, -v80
	v_pack_b32_f16 v80, v80, v141
	ds_write2_b32 v96, v7, v80 offset0:49 offset1:98
	v_lshrrev_b32_e32 v7, 16, v81
	v_mul_f16_sdwa v80, v7, v94 dst_sel:DWORD dst_unused:UNUSED_PAD src0_sel:DWORD src1_sel:WORD_1
	v_fma_f16 v92, v81, v94, -v80
	v_mul_f16_sdwa v80, v81, v94 dst_sel:DWORD dst_unused:UNUSED_PAD src0_sel:DWORD src1_sel:WORD_1
	v_fma_f16 v7, v7, v94, v80
	global_load_dword v94, v[100:101], off offset:3136
	global_load_dword v141, v[100:101], off offset:3332
	;; [unrolled: 1-line block ×3, first 2 shown]
	s_nop 0
	global_load_dword v100, v[100:101], off offset:3724
	ds_read2_b32 v[80:81], v161 offset0:16 offset1:65
	v_pack_b32_f16 v7, v92, v7
	s_waitcnt lgkmcnt(0)
	v_lshrrev_b32_e32 v101, 16, v80
	s_waitcnt vmcnt(3)
	v_mul_f16_sdwa v160, v80, v94 dst_sel:DWORD dst_unused:UNUSED_PAD src0_sel:DWORD src1_sel:WORD_1
	v_fma_f16 v160, v101, v94, v160
	v_mul_f16_sdwa v101, v101, v94 dst_sel:DWORD dst_unused:UNUSED_PAD src0_sel:DWORD src1_sel:WORD_1
	v_fma_f16 v80, v80, v94, -v101
	v_pack_b32_f16 v80, v80, v160
	ds_write2_b32 v158, v5, v80 offset0:95 offset1:144
	v_lshrrev_b32_e32 v5, 16, v85
	v_mul_f16_sdwa v80, v5, v164 dst_sel:DWORD dst_unused:UNUSED_PAD src0_sel:DWORD src1_sel:WORD_1
	v_fma_f16 v80, v85, v164, -v80
	v_mul_f16_sdwa v85, v85, v164 dst_sel:DWORD dst_unused:UNUSED_PAD src0_sel:DWORD src1_sel:WORD_1
	v_fma_f16 v5, v5, v164, v85
	v_pack_b32_f16 v94, v226, v84
	ds_read2_b32 v[84:85], v163 offset0:190 offset1:239
	v_pack_b32_f16 v5, v80, v5
	s_waitcnt lgkmcnt(0)
	v_lshrrev_b32_e32 v101, 16, v84
	v_mul_f16_sdwa v160, v84, v212 dst_sel:DWORD dst_unused:UNUSED_PAD src0_sel:DWORD src1_sel:WORD_1
	v_fma_f16 v160, v101, v212, v160
	v_mul_f16_sdwa v101, v101, v212 dst_sel:DWORD dst_unused:UNUSED_PAD src0_sel:DWORD src1_sel:WORD_1
	v_fma_f16 v84, v84, v212, -v101
	v_pack_b32_f16 v84, v84, v160
	ds_write2_b32 v163, v94, v84 offset0:141 offset1:190
	v_lshrrev_b32_e32 v84, 16, v87
	v_mul_f16_sdwa v94, v84, v230 dst_sel:DWORD dst_unused:UNUSED_PAD src0_sel:DWORD src1_sel:WORD_1
	v_fma_f16 v94, v87, v230, -v94
	v_mul_f16_sdwa v87, v87, v230 dst_sel:DWORD dst_unused:UNUSED_PAD src0_sel:DWORD src1_sel:WORD_1
	v_fma_f16 v84, v84, v230, v87
	v_pack_b32_f16 v101, v86, v139
	ds_read2_b32 v[86:87], v209 offset0:108 offset1:157
	v_pack_b32_f16 v94, v94, v84
	s_waitcnt lgkmcnt(0)
	v_lshrrev_b32_e32 v139, 16, v86
	v_mul_f16_sdwa v160, v86, v147 dst_sel:DWORD dst_unused:UNUSED_PAD src0_sel:DWORD src1_sel:WORD_1
	v_fma_f16 v160, v139, v147, v160
	v_mul_f16_sdwa v139, v139, v147 dst_sel:DWORD dst_unused:UNUSED_PAD src0_sel:DWORD src1_sel:WORD_1
	v_fma_f16 v86, v86, v147, -v139
	v_pack_b32_f16 v86, v86, v160
	ds_write2_b32 v209, v101, v86 offset0:59 offset1:108
	v_lshrrev_b32_e32 v86, 16, v93
	v_mul_f16_sdwa v101, v86, v238 dst_sel:DWORD dst_unused:UNUSED_PAD src0_sel:DWORD src1_sel:WORD_1
	v_fma_f16 v101, v93, v238, -v101
	v_mul_f16_sdwa v93, v93, v238 dst_sel:DWORD dst_unused:UNUSED_PAD src0_sel:DWORD src1_sel:WORD_1
	v_fma_f16 v86, v86, v238, v93
	ds_read2_b32 v[92:93], v173 offset0:106 offset1:155
	v_pack_b32_f16 v86, v101, v86
	s_waitcnt lgkmcnt(0)
	v_lshrrev_b32_e32 v139, 16, v92
	v_mul_f16_sdwa v147, v92, v135 dst_sel:DWORD dst_unused:UNUSED_PAD src0_sel:DWORD src1_sel:WORD_1
	v_fma_f16 v147, v139, v135, v147
	v_mul_f16_sdwa v139, v139, v135 dst_sel:DWORD dst_unused:UNUSED_PAD src0_sel:DWORD src1_sel:WORD_1
	v_fma_f16 v92, v92, v135, -v139
	v_pack_b32_f16 v92, v92, v147
	ds_write2_b32 v159, v7, v92 offset0:185 offset1:234
	v_lshrrev_b32_e32 v7, 16, v81
	s_waitcnt vmcnt(2)
	v_mul_f16_sdwa v92, v7, v141 dst_sel:DWORD dst_unused:UNUSED_PAD src0_sel:DWORD src1_sel:WORD_1
	v_fma_f16 v92, v81, v141, -v92
	v_mul_f16_sdwa v81, v81, v141 dst_sel:DWORD dst_unused:UNUSED_PAD src0_sel:DWORD src1_sel:WORD_1
	v_fma_f16 v7, v7, v141, v81
	global_load_dword v135, v[82:83], off offset:2020
	global_load_dword v139, v[82:83], off offset:2216
	global_load_dword v141, v[82:83], off offset:2412
	ds_read2_b32 v[80:81], v175 offset0:152 offset1:201
	v_pack_b32_f16 v7, v92, v7
	s_waitcnt lgkmcnt(0)
	v_lshrrev_b32_e32 v147, 16, v80
	s_waitcnt vmcnt(2)
	v_mul_f16_sdwa v160, v80, v135 dst_sel:DWORD dst_unused:UNUSED_PAD src0_sel:DWORD src1_sel:WORD_1
	v_fma_f16 v160, v147, v135, v160
	v_mul_f16_sdwa v147, v147, v135 dst_sel:DWORD dst_unused:UNUSED_PAD src0_sel:DWORD src1_sel:WORD_1
	v_fma_f16 v80, v80, v135, -v147
	v_pack_b32_f16 v80, v80, v160
	ds_write2_b32 v175, v5, v80 offset0:103 offset1:152
	v_lshrrev_b32_e32 v5, 16, v85
	v_mul_f16_sdwa v80, v5, v213 dst_sel:DWORD dst_unused:UNUSED_PAD src0_sel:DWORD src1_sel:WORD_1
	v_fma_f16 v80, v85, v213, -v80
	v_mul_f16_sdwa v85, v85, v213 dst_sel:DWORD dst_unused:UNUSED_PAD src0_sel:DWORD src1_sel:WORD_1
	v_fma_f16 v5, v5, v213, v85
	ds_read2_b32 v[84:85], v191 offset0:70 offset1:119
	v_pack_b32_f16 v5, v80, v5
	s_waitcnt lgkmcnt(0)
	v_lshrrev_b32_e32 v135, 16, v84
	v_mul_f16_sdwa v147, v84, v232 dst_sel:DWORD dst_unused:UNUSED_PAD src0_sel:DWORD src1_sel:WORD_1
	v_fma_f16 v147, v135, v232, v147
	v_mul_f16_sdwa v135, v135, v232 dst_sel:DWORD dst_unused:UNUSED_PAD src0_sel:DWORD src1_sel:WORD_1
	v_fma_f16 v84, v84, v232, -v135
	v_pack_b32_f16 v84, v84, v147
	ds_write2_b32 v191, v94, v84 offset0:21 offset1:70
	v_lshrrev_b32_e32 v84, 16, v87
	v_mul_f16_sdwa v94, v84, v146 dst_sel:DWORD dst_unused:UNUSED_PAD src0_sel:DWORD src1_sel:WORD_1
	v_fma_f16 v94, v87, v146, -v94
	v_mul_f16_sdwa v87, v87, v146 dst_sel:DWORD dst_unused:UNUSED_PAD src0_sel:DWORD src1_sel:WORD_1
	v_fma_f16 v84, v84, v146, v87
	v_lshrrev_b32_e32 v87, 16, v136
	v_mul_f16_sdwa v135, v87, v237 dst_sel:DWORD dst_unused:UNUSED_PAD src0_sel:DWORD src1_sel:WORD_1
	v_fma_f16 v135, v136, v237, -v135
	v_mul_f16_sdwa v136, v136, v237 dst_sel:DWORD dst_unused:UNUSED_PAD src0_sel:DWORD src1_sel:WORD_1
	v_fma_f16 v87, v87, v237, v136
	v_pack_b32_f16 v87, v135, v87
	ds_write2_b32 v96, v86, v87 offset0:147 offset1:196
	v_lshrrev_b32_e32 v86, 16, v93
	v_mul_f16_sdwa v87, v86, v137 dst_sel:DWORD dst_unused:UNUSED_PAD src0_sel:DWORD src1_sel:WORD_1
	v_fma_f16 v101, v93, v137, -v87
	v_mul_f16_sdwa v87, v93, v137 dst_sel:DWORD dst_unused:UNUSED_PAD src0_sel:DWORD src1_sel:WORD_1
	v_fma_f16 v93, v86, v137, v87
	ds_read2_b32 v[86:87], v161 offset0:114 offset1:163
	v_pack_b32_f16 v84, v94, v84
	v_mul_f16_sdwa v94, v134, v6 dst_sel:DWORD dst_unused:UNUSED_PAD src0_sel:DWORD src1_sel:WORD_1
	s_waitcnt lgkmcnt(0)
	v_lshrrev_b32_e32 v92, 16, v86
	v_mul_f16_sdwa v135, v86, v239 dst_sel:DWORD dst_unused:UNUSED_PAD src0_sel:DWORD src1_sel:WORD_1
	v_fma_f16 v135, v92, v239, v135
	v_mul_f16_sdwa v92, v92, v239 dst_sel:DWORD dst_unused:UNUSED_PAD src0_sel:DWORD src1_sel:WORD_1
	v_fma_f16 v86, v86, v239, -v92
	v_pack_b32_f16 v86, v86, v135
	ds_write2_b32 v161, v7, v86 offset0:65 offset1:114
	global_load_dword v92, v[82:83], off offset:3588
	global_load_dword v135, v[82:83], off offset:3784
	v_lshrrev_b32_e32 v7, 16, v81
	s_waitcnt vmcnt(3)
	v_mul_f16_sdwa v86, v7, v139 dst_sel:DWORD dst_unused:UNUSED_PAD src0_sel:DWORD src1_sel:WORD_1
	v_fma_f16 v86, v81, v139, -v86
	v_mul_f16_sdwa v81, v81, v139 dst_sel:DWORD dst_unused:UNUSED_PAD src0_sel:DWORD src1_sel:WORD_1
	v_fma_f16 v7, v7, v139, v81
	ds_read2_b32 v[80:81], v165 offset0:32 offset1:81
	v_pack_b32_f16 v7, v86, v7
	s_waitcnt lgkmcnt(0)
	v_lshrrev_b32_e32 v82, 16, v80
	s_waitcnt vmcnt(1)
	v_mul_f16_sdwa v83, v80, v92 dst_sel:DWORD dst_unused:UNUSED_PAD src0_sel:DWORD src1_sel:WORD_1
	v_fma_f16 v83, v82, v92, v83
	v_mul_f16_sdwa v82, v82, v92 dst_sel:DWORD dst_unused:UNUSED_PAD src0_sel:DWORD src1_sel:WORD_1
	v_fma_f16 v80, v80, v92, -v82
	v_pack_b32_f16 v80, v80, v83
	ds_write2_b32 v162, v5, v80 offset0:111 offset1:160
	v_lshrrev_b32_e32 v5, 16, v85
	v_mul_f16_sdwa v82, v85, v241 dst_sel:DWORD dst_unused:UNUSED_PAD src0_sel:DWORD src1_sel:WORD_1
	v_mul_f16_sdwa v80, v5, v241 dst_sel:DWORD dst_unused:UNUSED_PAD src0_sel:DWORD src1_sel:WORD_1
	v_fma_f16 v5, v5, v241, v82
	ds_read2_b32 v[82:83], v209 offset0:206 offset1:255
	v_fma_f16 v80, v85, v241, -v80
	v_pack_b32_f16 v5, v80, v5
	s_waitcnt lgkmcnt(0)
	v_lshrrev_b32_e32 v85, 16, v82
	v_mul_f16_sdwa v92, v82, v145 dst_sel:DWORD dst_unused:UNUSED_PAD src0_sel:DWORD src1_sel:WORD_1
	v_fma_f16 v92, v85, v145, v92
	v_mul_f16_sdwa v85, v85, v145 dst_sel:DWORD dst_unused:UNUSED_PAD src0_sel:DWORD src1_sel:WORD_1
	v_fma_f16 v82, v82, v145, -v85
	v_pack_b32_f16 v82, v82, v92
	ds_write2_b32 v209, v84, v82 offset0:157 offset1:206
	ds_read2_b32 v[84:85], v207 offset0:76 offset1:125
	v_pack_b32_f16 v82, v101, v93
	v_mul_f16_sdwa v80, v83, v144 dst_sel:DWORD dst_unused:UNUSED_PAD src0_sel:DWORD src1_sel:WORD_1
	s_waitcnt lgkmcnt(0)
	v_lshrrev_b32_e32 v92, 16, v84
	v_mul_f16_sdwa v93, v84, v138 dst_sel:DWORD dst_unused:UNUSED_PAD src0_sel:DWORD src1_sel:WORD_1
	v_fma_f16 v93, v92, v138, v93
	v_mul_f16_sdwa v92, v92, v138 dst_sel:DWORD dst_unused:UNUSED_PAD src0_sel:DWORD src1_sel:WORD_1
	v_fma_f16 v84, v84, v138, -v92
	v_pack_b32_f16 v84, v84, v93
	ds_write2_b32 v207, v82, v84 offset0:27 offset1:76
	v_lshrrev_b32_e32 v82, 16, v87
	v_mul_f16_sdwa v84, v82, v100 dst_sel:DWORD dst_unused:UNUSED_PAD src0_sel:DWORD src1_sel:WORD_1
	v_fma_f16 v84, v87, v100, -v84
	v_mul_f16_sdwa v87, v87, v100 dst_sel:DWORD dst_unused:UNUSED_PAD src0_sel:DWORD src1_sel:WORD_1
	v_fma_f16 v82, v82, v100, v87
	ds_read2_b32 v[86:87], v152 offset0:122 offset1:171
	v_pack_b32_f16 v82, v84, v82
	s_waitcnt lgkmcnt(0)
	v_lshrrev_b32_e32 v92, 16, v86
	v_mul_f16_sdwa v93, v86, v141 dst_sel:DWORD dst_unused:UNUSED_PAD src0_sel:DWORD src1_sel:WORD_1
	v_fma_f16 v93, v92, v141, v93
	v_mul_f16_sdwa v92, v92, v141 dst_sel:DWORD dst_unused:UNUSED_PAD src0_sel:DWORD src1_sel:WORD_1
	v_fma_f16 v86, v86, v141, -v92
	v_pack_b32_f16 v86, v86, v93
	ds_write2_b32 v175, v7, v86 offset0:201 offset1:250
	global_load_dword v7, v[132:133], off offset:2628
	v_lshrrev_b32_e32 v86, 16, v81
	s_waitcnt vmcnt(1)
	v_mul_f16_sdwa v92, v86, v135 dst_sel:DWORD dst_unused:UNUSED_PAD src0_sel:DWORD src1_sel:WORD_1
	v_fma_f16 v92, v81, v135, -v92
	v_mul_f16_sdwa v81, v81, v135 dst_sel:DWORD dst_unused:UNUSED_PAD src0_sel:DWORD src1_sel:WORD_1
	v_fma_f16 v81, v86, v135, v81
	v_lshrrev_b32_e32 v86, 16, v134
	v_mul_f16_sdwa v93, v86, v6 dst_sel:DWORD dst_unused:UNUSED_PAD src0_sel:DWORD src1_sel:WORD_1
	v_fma_f16 v93, v134, v6, -v93
	v_fma_f16 v6, v86, v6, v94
	v_pack_b32_f16 v6, v93, v6
	ds_write2_b32 v191, v5, v6 offset0:119 offset1:168
	v_lshrrev_b32_e32 v5, 16, v83
	v_mul_f16_sdwa v6, v5, v144 dst_sel:DWORD dst_unused:UNUSED_PAD src0_sel:DWORD src1_sel:WORD_1
	v_fma_f16 v5, v5, v144, v80
	v_lshrrev_b32_e32 v80, 16, v85
	v_fma_f16 v6, v83, v144, -v6
	v_mul_f16_sdwa v83, v80, v142 dst_sel:DWORD dst_unused:UNUSED_PAD src0_sel:DWORD src1_sel:WORD_1
	v_fma_f16 v83, v85, v142, -v83
	v_mul_f16_sdwa v85, v85, v142 dst_sel:DWORD dst_unused:UNUSED_PAD src0_sel:DWORD src1_sel:WORD_1
	v_fma_f16 v80, v80, v142, v85
	v_pack_b32_f16 v80, v83, v80
	ds_write2_b32 v207, v80, v4 offset0:125 offset1:174
	v_lshrrev_b32_e32 v4, 16, v88
	v_mul_f16_sdwa v80, v4, v210 dst_sel:DWORD dst_unused:UNUSED_PAD src0_sel:DWORD src1_sel:WORD_1
	v_mul_f16_sdwa v83, v88, v210 dst_sel:DWORD dst_unused:UNUSED_PAD src0_sel:DWORD src1_sel:WORD_1
	v_fma_f16 v80, v88, v210, -v80
	v_fma_f16 v4, v4, v210, v83
	v_pack_b32_f16 v4, v80, v4
	ds_write2_b32 v161, v82, v4 offset0:163 offset1:212
	v_lshrrev_b32_e32 v4, 16, v87
	v_mul_f16_sdwa v80, v4, v219 dst_sel:DWORD dst_unused:UNUSED_PAD src0_sel:DWORD src1_sel:WORD_1
	v_mul_f16_sdwa v82, v87, v219 dst_sel:DWORD dst_unused:UNUSED_PAD src0_sel:DWORD src1_sel:WORD_1
	v_fma_f16 v80, v87, v219, -v80
	v_fma_f16 v4, v4, v219, v82
	v_pack_b32_f16 v82, v89, v222
	v_pack_b32_f16 v4, v80, v4
	ds_read_b32 v83, v96 offset:9408
	ds_write2_b32 v163, v4, v82 offset0:43 offset1:92
	v_lshrrev_b32_e32 v4, 16, v140
	v_mul_f16_sdwa v80, v4, v242 dst_sel:DWORD dst_unused:UNUSED_PAD src0_sel:DWORD src1_sel:WORD_1
	v_mul_f16_sdwa v82, v140, v242 dst_sel:DWORD dst_unused:UNUSED_PAD src0_sel:DWORD src1_sel:WORD_1
	v_fma_f16 v80, v140, v242, -v80
	v_fma_f16 v4, v4, v242, v82
	v_pack_b32_f16 v81, v92, v81
	v_pack_b32_f16 v4, v80, v4
	ds_write2_b32 v165, v81, v4 offset0:81 offset1:130
	s_waitcnt lgkmcnt(2)
	v_lshrrev_b32_e32 v4, 16, v83
	v_pack_b32_f16 v5, v6, v5
	s_waitcnt vmcnt(0)
	v_mul_f16_sdwa v80, v4, v7 dst_sel:DWORD dst_unused:UNUSED_PAD src0_sel:DWORD src1_sel:WORD_1
	v_mul_f16_sdwa v81, v83, v7 dst_sel:DWORD dst_unused:UNUSED_PAD src0_sel:DWORD src1_sel:WORD_1
	v_fma_f16 v80, v83, v7, -v80
	v_fma_f16 v4, v4, v7, v81
	v_pack_b32_f16 v4, v80, v4
	ds_write2_b32 v157, v5, v4 offset0:127 offset1:176
	s_waitcnt lgkmcnt(0)
	; wave barrier
	s_waitcnt lgkmcnt(0)
	ds_read2_b32 v[80:81], v207 offset0:174 offset1:223
	ds_read2_b32 v[88:89], v165 offset0:130 offset1:179
	;; [unrolled: 1-line block ×5, first 2 shown]
	s_waitcnt lgkmcnt(3)
	v_add_f16_e32 v245, v80, v89
	v_add_f16_sdwa v246, v80, v89 dst_sel:DWORD dst_unused:UNUSED_PAD src0_sel:WORD_1 src1_sel:WORD_1
	v_sub_f16_e32 v101, v80, v89
	v_sub_f16_sdwa v100, v80, v89 dst_sel:DWORD dst_unused:UNUSED_PAD src0_sel:WORD_1 src1_sel:WORD_1
	s_waitcnt lgkmcnt(2)
	v_add_f16_e32 v135, v81, v82
	v_add_f16_sdwa v134, v81, v82 dst_sel:DWORD dst_unused:UNUSED_PAD src0_sel:WORD_1 src1_sel:WORD_1
	v_sub_f16_e32 v133, v81, v82
	v_sub_f16_sdwa v132, v81, v82 dst_sel:DWORD dst_unused:UNUSED_PAD src0_sel:WORD_1 src1_sel:WORD_1
	ds_read2_b32 v[80:81], v191 offset0:70 offset1:119
	s_waitcnt lgkmcnt(2)
	v_add_f16_e32 v138, v84, v83
	v_add_f16_sdwa v139, v84, v83 dst_sel:DWORD dst_unused:UNUSED_PAD src0_sel:WORD_1 src1_sel:WORD_1
	v_sub_f16_e32 v137, v84, v83
	v_sub_f16_sdwa v136, v84, v83 dst_sel:DWORD dst_unused:UNUSED_PAD src0_sel:WORD_1 src1_sel:WORD_1
	ds_read2_b32 v[82:83], v161 offset0:114 offset1:163
	;; [unrolled: 6-line block ×5, first 2 shown]
	s_waitcnt lgkmcnt(1)
	v_add_f16_e32 v244, v80, v85
	v_add_f16_sdwa v242, v80, v85 dst_sel:DWORD dst_unused:UNUSED_PAD src0_sel:WORD_1 src1_sel:WORD_1
	v_sub_f16_e32 v240, v80, v85
	v_sub_f16_sdwa v147, v80, v85 dst_sel:DWORD dst_unused:UNUSED_PAD src0_sel:WORD_1 src1_sel:WORD_1
	s_waitcnt lgkmcnt(0)
	v_add_f16_e32 v4, v81, v82
	v_add_f16_sdwa v5, v81, v82 dst_sel:DWORD dst_unused:UNUSED_PAD src0_sel:WORD_1 src1_sel:WORD_1
	v_sub_f16_e32 v6, v82, v81
	v_sub_f16_sdwa v7, v82, v81 dst_sel:DWORD dst_unused:UNUSED_PAD src0_sel:WORD_1 src1_sel:WORD_1
	ds_read2_b32 v[80:81], v175 offset0:54 offset1:103
	ds_read2_b32 v[84:85], v165 offset0:32 offset1:81
	v_add_f16_e32 v252, v87, v88
	v_add_f16_sdwa v250, v87, v88 dst_sel:DWORD dst_unused:UNUSED_PAD src0_sel:WORD_1 src1_sel:WORD_1
	v_sub_f16_e32 v249, v88, v87
	s_waitcnt lgkmcnt(1)
	v_add_f16_e32 v94, v80, v83
	v_add_f16_sdwa v160, v80, v83 dst_sel:DWORD dst_unused:UNUSED_PAD src0_sel:WORD_1 src1_sel:WORD_1
	v_sub_f16_e32 v164, v83, v80
	v_sub_f16_sdwa v210, v83, v80 dst_sel:DWORD dst_unused:UNUSED_PAD src0_sel:WORD_1 src1_sel:WORD_1
	ds_read2_b32 v[82:83], v163 offset0:190 offset1:239
	v_sub_f16_sdwa v247, v88, v87 dst_sel:DWORD dst_unused:UNUSED_PAD src0_sel:WORD_1 src1_sel:WORD_1
	v_sub_f16_e32 v170, v6, v101
	v_mul_f16_e32 v170, 0x3846, v170
	s_waitcnt lgkmcnt(0)
	v_add_f16_e32 v219, v81, v82
	v_add_f16_sdwa v222, v81, v82 dst_sel:DWORD dst_unused:UNUSED_PAD src0_sel:WORD_1 src1_sel:WORD_1
	v_sub_f16_e32 v226, v82, v81
	v_sub_f16_sdwa v230, v82, v81 dst_sel:DWORD dst_unused:UNUSED_PAD src0_sel:WORD_1 src1_sel:WORD_1
	ds_read2_b32 v[80:81], v175 offset0:152 offset1:201
	v_add_f16_sdwa v82, v86, v85 dst_sel:DWORD dst_unused:UNUSED_PAD src0_sel:WORD_1 src1_sel:WORD_1
	s_waitcnt lgkmcnt(0)
	v_add_f16_e32 v232, v80, v83
	v_add_f16_sdwa v166, v80, v83 dst_sel:DWORD dst_unused:UNUSED_PAD src0_sel:WORD_1 src1_sel:WORD_1
	v_sub_f16_e32 v168, v83, v80
	v_sub_f16_sdwa v176, v83, v80 dst_sel:DWORD dst_unused:UNUSED_PAD src0_sel:WORD_1 src1_sel:WORD_1
	v_add_f16_e32 v178, v81, v84
	v_add_f16_sdwa v180, v81, v84 dst_sel:DWORD dst_unused:UNUSED_PAD src0_sel:WORD_1 src1_sel:WORD_1
	v_sub_f16_e32 v184, v84, v81
	v_sub_f16_sdwa v186, v84, v81 dst_sel:DWORD dst_unused:UNUSED_PAD src0_sel:WORD_1 src1_sel:WORD_1
	v_add_f16_e32 v83, v86, v85
	v_sub_f16_e32 v81, v85, v86
	v_sub_f16_sdwa v80, v85, v86 dst_sel:DWORD dst_unused:UNUSED_PAD src0_sel:WORD_1 src1_sel:WORD_1
	ds_read_b32 v86, v96 offset:9408
	ds_read2_b32 v[84:85], v207 offset0:76 offset1:125
	ds_read2_b32 v[88:89], v209 offset0:206 offset1:255
	;; [unrolled: 1-line block ×4, first 2 shown]
	s_waitcnt lgkmcnt(3)
	v_add_f16_e32 v254, v85, v86
	v_add_f16_sdwa v253, v85, v86 dst_sel:DWORD dst_unused:UNUSED_PAD src0_sel:WORD_1 src1_sel:WORD_1
	v_sub_f16_e32 v251, v85, v86
	v_sub_f16_sdwa v248, v85, v86 dst_sel:DWORD dst_unused:UNUSED_PAD src0_sel:WORD_1 src1_sel:WORD_1
	s_waitcnt lgkmcnt(2)
	v_add_f16_e32 v87, v84, v89
	v_add_f16_sdwa v86, v84, v89 dst_sel:DWORD dst_unused:UNUSED_PAD src0_sel:WORD_1 src1_sel:WORD_1
	v_sub_f16_e32 v85, v84, v89
	v_sub_f16_sdwa v84, v84, v89 dst_sel:DWORD dst_unused:UNUSED_PAD src0_sel:WORD_1 src1_sel:WORD_1
	;; [unrolled: 5-line block ×3, first 2 shown]
	ds_read2_b32 v[88:89], v209 offset0:108 offset1:157
	s_waitcnt lgkmcnt(0)
	v_add_f16_e32 v196, v92, v89
	v_add_f16_sdwa v198, v92, v89 dst_sel:DWORD dst_unused:UNUSED_PAD src0_sel:WORD_1 src1_sel:WORD_1
	v_sub_f16_e32 v200, v92, v89
	v_sub_f16_sdwa v220, v92, v89 dst_sel:DWORD dst_unused:UNUSED_PAD src0_sel:WORD_1 src1_sel:WORD_1
	ds_read2_b32 v[92:93], v159 offset0:136 offset1:185
	s_waitcnt lgkmcnt(0)
	v_add_f16_e32 v202, v93, v88
	v_add_f16_sdwa v204, v93, v88 dst_sel:DWORD dst_unused:UNUSED_PAD src0_sel:WORD_1 src1_sel:WORD_1
	v_sub_f16_e32 v224, v93, v88
	v_sub_f16_sdwa v206, v93, v88 dst_sel:DWORD dst_unused:UNUSED_PAD src0_sel:WORD_1 src1_sel:WORD_1
	ds_read2_b32 v[88:89], v159 offset0:38 offset1:87
	v_add_f16_e32 v172, v92, v213
	v_add_f16_sdwa v190, v92, v213 dst_sel:DWORD dst_unused:UNUSED_PAD src0_sel:WORD_1 src1_sel:WORD_1
	v_sub_f16_e32 v162, v92, v213
	v_sub_f16_sdwa v174, v92, v213 dst_sel:DWORD dst_unused:UNUSED_PAD src0_sel:WORD_1 src1_sel:WORD_1
	s_waitcnt lgkmcnt(0)
	v_add_f16_e32 v92, v89, v212
	v_add_f16_sdwa v93, v89, v212 dst_sel:DWORD dst_unused:UNUSED_PAD src0_sel:WORD_1 src1_sel:WORD_1
	v_sub_f16_e32 v213, v89, v212
	v_sub_f16_sdwa v89, v89, v212 dst_sel:DWORD dst_unused:UNUSED_PAD src0_sel:WORD_1 src1_sel:WORD_1
	v_add_f16_e32 v212, v245, v92
	v_sub_f16_e32 v182, v245, v92
	v_sub_f16_e32 v92, v92, v4
	;; [unrolled: 1-line block ×3, first 2 shown]
	v_add_f16_e32 v4, v4, v212
	v_add_f16_e32 v212, v246, v93
	v_sub_f16_e32 v208, v246, v93
	v_sub_f16_e32 v93, v93, v5
	;; [unrolled: 1-line block ×3, first 2 shown]
	v_add_f16_e32 v5, v5, v212
	v_add_f16_e32 v212, v6, v101
	v_sub_f16_e32 v154, v101, v213
	v_add_f16_e32 v101, v7, v100
	v_add_f16_e32 v152, v212, v213
	v_sub_f16_e32 v212, v7, v100
	v_sub_f16_e32 v7, v89, v7
	v_sub_f16_e32 v148, v100, v89
	v_add_f16_e32 v89, v101, v89
	v_mul_f16_e32 v100, 0x3a52, v92
	v_mul_f16_e32 v101, 0x3a52, v93
	ds_read2_b32 v[92:93], v96 offset1:49
	v_sub_f16_e32 v6, v213, v6
	v_mul_f16_e32 v213, 0x3b00, v154
	v_mul_f16_e32 v149, 0x3b00, v148
	;; [unrolled: 1-line block ×3, first 2 shown]
	s_waitcnt lgkmcnt(0)
	v_add_f16_e32 v229, v4, v92
	v_add_f16_sdwa v92, v5, v92 dst_sel:DWORD dst_unused:UNUSED_PAD src0_sel:DWORD src1_sel:WORD_1
	v_fma_f16 v4, v4, s6, v229
	v_fma_f16 v5, v5, s6, v92
	;; [unrolled: 1-line block ×4, first 2 shown]
	v_fma_f16 v231, v182, s3, -v100
	v_fma_f16 v95, v208, s3, -v101
	v_fma_f16 v100, v245, s8, v100
	v_fma_f16 v101, v246, s8, v101
	v_fma_f16 v6, v6, s2, v170
	v_fma_f16 v7, v7, s2, v156
	v_add_f16_e32 v231, v231, v4
	v_add_f16_e32 v95, v95, v5
	v_fma_f16 v228, v152, s10, v213
	v_fma_f16 v149, v89, s10, v149
	v_add_f16_e32 v0, v100, v4
	v_add_f16_e32 v1, v101, v5
	v_fma_f16 v2, v152, s10, v6
	v_fma_f16 v3, v89, s10, v7
	v_add_f16_e32 v157, v149, v231
	v_sub_f16_e32 v213, v95, v228
	v_add_f16_e32 v6, v0, v3
	v_sub_f16_e32 v7, v1, v2
	v_pack_b32_f16 v157, v157, v213
	v_pack_b32_f16 v6, v6, v7
	ds_read2_b32 v[212:213], v96 offset0:98 offset1:147
	ds_read2_b32 v[100:101], v96 offset0:196 offset1:245
	s_waitcnt lgkmcnt(0)
	; wave barrier
	s_waitcnt lgkmcnt(0)
	ds_write2_b32 v221, v6, v157 offset0:1 offset1:2
	v_mul_f16_e32 v6, 0x2b26, v245
	v_mul_f16_e32 v7, 0x2b26, v246
	v_fma_f16 v6, v182, s9, -v6
	v_fma_f16 v7, v208, s9, -v7
	;; [unrolled: 1-line block ×4, first 2 shown]
	v_add_f16_e32 v4, v6, v4
	v_add_f16_e32 v5, v7, v5
	v_fma_f16 v6, v152, s10, v154
	v_fma_f16 v7, v89, s10, v148
	v_sub_f16_e32 v89, v4, v7
	v_add_f16_e32 v4, v7, v4
	v_add_f16_e32 v7, v6, v5
	v_sub_f16_e32 v5, v5, v6
	v_pack_b32_f16 v4, v4, v5
	v_pack_b32_f16 v5, v89, v7
	ds_write2_b32 v221, v5, v4 offset0:3 offset1:4
	v_sub_f16_e32 v4, v231, v149
	v_add_f16_e32 v5, v228, v95
	v_sub_f16_e32 v0, v0, v3
	v_add_f16_e32 v1, v2, v1
	v_pack_b32_f16 v0, v0, v1
	v_pack_b32_f16 v1, v4, v5
	ds_write2_b32 v221, v1, v0 offset0:5 offset1:6
	v_lshlrev_b32_e32 v0, 16, v92
	v_or_b32_e32 v0, v0, v229
	v_sub_f16_e32 v2, v172, v94
	ds_write_b32 v221, v0
	v_add_f16_e32 v0, v135, v172
	v_sub_f16_e32 v1, v135, v172
	v_sub_f16_e32 v3, v94, v135
	v_add_f16_e32 v4, v134, v190
	v_mul_f16_e32 v2, 0x3a52, v2
	v_add_f16_e32 v0, v94, v0
	v_sub_f16_e32 v5, v134, v190
	v_sub_f16_e32 v6, v190, v160
	;; [unrolled: 1-line block ×3, first 2 shown]
	v_add_f16_e32 v4, v160, v4
	v_sub_f16_e32 v92, v164, v133
	v_sub_f16_e32 v134, v210, v132
	v_fma_f16 v154, v1, s3, -v2
	v_fma_f16 v2, v3, s8, v2
	v_mul_f16_e32 v3, 0x2b26, v3
	v_add_f16_e32 v89, v164, v133
	v_sub_f16_e32 v95, v133, v162
	v_add_f16_e32 v133, v210, v132
	v_sub_f16_e32 v132, v132, v174
	v_add_f16_e32 v148, v0, v93
	v_add_f16_sdwa v93, v4, v93 dst_sel:DWORD dst_unused:UNUSED_PAD src0_sel:DWORD src1_sel:WORD_1
	v_mul_f16_e32 v6, 0x3a52, v6
	v_mul_f16_e32 v92, 0x3846, v92
	;; [unrolled: 1-line block ×3, first 2 shown]
	v_fma_f16 v1, v1, s9, -v3
	v_mul_f16_e32 v3, 0x2b26, v7
	v_sub_f16_e32 v94, v162, v164
	v_add_f16_e32 v89, v89, v162
	v_sub_f16_e32 v135, v174, v210
	v_add_f16_e32 v133, v133, v174
	v_fma_f16 v0, v0, s6, v148
	v_fma_f16 v4, v4, s6, v93
	v_mul_f16_e32 v149, 0x3b00, v95
	v_mul_f16_e32 v152, 0x3b00, v132
	v_fma_f16 v156, v5, s3, -v6
	v_fma_f16 v6, v7, s8, v6
	v_fma_f16 v3, v5, s9, -v3
	v_fma_f16 v5, v95, s11, -v92
	;; [unrolled: 1-line block ×3, first 2 shown]
	v_fma_f16 v149, v94, s7, v149
	v_fma_f16 v152, v135, s7, v152
	v_add_f16_e32 v154, v154, v0
	v_add_f16_e32 v156, v156, v4
	;; [unrolled: 1-line block ×6, first 2 shown]
	v_fma_f16 v3, v89, s10, v5
	v_fma_f16 v4, v133, s10, v7
	;; [unrolled: 1-line block ×6, first 2 shown]
	v_sub_f16_e32 v5, v0, v4
	v_add_f16_e32 v0, v4, v0
	v_add_f16_e32 v4, v3, v1
	v_sub_f16_e32 v1, v1, v3
	v_add_f16_e32 v157, v152, v154
	v_sub_f16_e32 v160, v156, v149
	v_fma_f16 v94, v89, s10, v94
	v_fma_f16 v135, v133, s10, v135
	v_pack_b32_f16 v0, v0, v1
	v_pack_b32_f16 v1, v5, v4
	v_accvgpr_read_b32 v4, a59
	v_pack_b32_f16 v157, v157, v160
	v_add_f16_e32 v160, v2, v135
	ds_write2_b32 v4, v1, v0 offset0:3 offset1:4
	v_sub_f16_e32 v0, v154, v152
	v_add_f16_e32 v1, v149, v156
	v_sub_f16_e32 v2, v2, v135
	v_add_f16_e32 v3, v94, v6
	v_pack_b32_f16 v2, v2, v3
	v_pack_b32_f16 v0, v0, v1
	ds_write2_b32 v4, v0, v2 offset0:5 offset1:6
	v_lshlrev_b32_e32 v0, 16, v93
	v_or_b32_e32 v0, v0, v148
	v_sub_f16_e32 v2, v202, v219
	ds_write_b32 v4, v0
	v_add_f16_e32 v0, v138, v202
	v_sub_f16_e32 v1, v138, v202
	v_sub_f16_e32 v3, v219, v138
	v_add_f16_e32 v4, v139, v204
	v_mul_f16_e32 v2, 0x3a52, v2
	v_sub_f16_e32 v162, v6, v94
	v_add_f16_e32 v0, v219, v0
	v_sub_f16_e32 v5, v139, v204
	v_sub_f16_e32 v6, v204, v222
	v_sub_f16_e32 v7, v222, v139
	v_add_f16_e32 v4, v222, v4
	v_sub_f16_e32 v92, v226, v137
	v_sub_f16_e32 v132, v230, v136
	v_fma_f16 v139, v1, s3, -v2
	v_fma_f16 v2, v3, s8, v2
	v_mul_f16_e32 v3, 0x2b26, v3
	v_add_f16_e32 v89, v226, v137
	v_sub_f16_e32 v94, v137, v224
	v_add_f16_e32 v95, v230, v136
	v_sub_f16_e32 v134, v136, v206
	v_mul_f16_e32 v6, 0x3a52, v6
	v_add_f16_e32 v135, v0, v212
	v_add_f16_sdwa v136, v4, v212 dst_sel:DWORD dst_unused:UNUSED_PAD src0_sel:DWORD src1_sel:WORD_1
	v_mul_f16_e32 v92, 0x3846, v92
	v_mul_f16_e32 v132, 0x3846, v132
	v_fma_f16 v1, v1, s9, -v3
	v_mul_f16_e32 v3, 0x2b26, v7
	v_sub_f16_e32 v93, v224, v226
	v_add_f16_e32 v89, v89, v224
	v_sub_f16_e32 v133, v206, v230
	v_add_f16_e32 v95, v95, v206
	v_fma_f16 v0, v0, s6, v135
	v_fma_f16 v4, v4, s6, v136
	v_mul_f16_e32 v137, 0x3b00, v94
	v_mul_f16_e32 v138, 0x3b00, v134
	v_fma_f16 v148, v5, s3, -v6
	v_fma_f16 v6, v7, s8, v6
	v_fma_f16 v3, v5, s9, -v3
	v_fma_f16 v5, v94, s11, -v92
	;; [unrolled: 1-line block ×3, first 2 shown]
	v_fma_f16 v137, v93, s7, v137
	v_fma_f16 v138, v133, s7, v138
	v_add_f16_e32 v139, v139, v0
	v_add_f16_e32 v148, v148, v4
	;; [unrolled: 1-line block ×6, first 2 shown]
	v_fma_f16 v3, v89, s10, v5
	v_fma_f16 v4, v95, s10, v7
	;; [unrolled: 1-line block ×6, first 2 shown]
	v_sub_f16_e32 v5, v0, v4
	v_add_f16_e32 v0, v4, v0
	v_add_f16_e32 v4, v3, v1
	v_sub_f16_e32 v1, v1, v3
	v_pack_b32_f16 v160, v160, v162
	v_accvgpr_read_b32 v162, a59
	v_add_f16_e32 v149, v138, v139
	v_sub_f16_e32 v152, v148, v137
	v_fma_f16 v93, v89, s10, v93
	v_fma_f16 v133, v95, s10, v133
	v_pack_b32_f16 v0, v0, v1
	v_pack_b32_f16 v1, v5, v4
	ds_write2_b32 v162, v160, v157 offset0:1 offset1:2
	v_pack_b32_f16 v149, v149, v152
	v_add_f16_e32 v152, v2, v133
	ds_write2_b32 v255, v1, v0 offset0:3 offset1:4
	v_sub_f16_e32 v0, v139, v138
	v_add_f16_e32 v1, v137, v148
	v_sub_f16_e32 v2, v2, v133
	v_add_f16_e32 v3, v93, v6
	v_pack_b32_f16 v2, v2, v3
	v_pack_b32_f16 v0, v0, v1
	ds_write2_b32 v255, v0, v2 offset0:5 offset1:6
	v_lshlrev_b32_e32 v0, 16, v136
	v_or_b32_e32 v0, v0, v135
	v_sub_f16_e32 v2, v196, v232
	ds_write_b32 v255, v0
	v_add_f16_e32 v0, v144, v196
	v_sub_f16_e32 v1, v144, v196
	v_sub_f16_e32 v3, v232, v144
	v_add_f16_e32 v4, v142, v198
	v_mul_f16_e32 v2, 0x3a52, v2
	v_sub_f16_e32 v154, v6, v93
	v_add_f16_e32 v0, v232, v0
	v_sub_f16_e32 v6, v198, v166
	v_sub_f16_e32 v7, v166, v142
	v_add_f16_e32 v4, v166, v4
	v_sub_f16_e32 v92, v168, v141
	v_sub_f16_e32 v132, v176, v140
	v_fma_f16 v139, v1, s3, -v2
	v_fma_f16 v2, v3, s8, v2
	v_mul_f16_e32 v3, 0x2b26, v3
	v_sub_f16_e32 v5, v142, v198
	v_add_f16_e32 v89, v168, v141
	v_sub_f16_e32 v94, v141, v200
	v_add_f16_e32 v95, v176, v140
	;; [unrolled: 2-line block ×3, first 2 shown]
	v_add_f16_sdwa v136, v4, v213 dst_sel:DWORD dst_unused:UNUSED_PAD src0_sel:DWORD src1_sel:WORD_1
	v_mul_f16_e32 v6, 0x3a52, v6
	v_mul_f16_e32 v92, 0x3846, v92
	;; [unrolled: 1-line block ×3, first 2 shown]
	v_fma_f16 v1, v1, s9, -v3
	v_mul_f16_e32 v3, 0x2b26, v7
	v_sub_f16_e32 v93, v200, v168
	v_add_f16_e32 v89, v89, v200
	v_sub_f16_e32 v133, v220, v176
	v_add_f16_e32 v95, v95, v220
	v_fma_f16 v0, v0, s6, v135
	v_fma_f16 v4, v4, s6, v136
	v_mul_f16_e32 v137, 0x3b00, v94
	v_mul_f16_e32 v138, 0x3b00, v134
	v_fma_f16 v140, v5, s3, -v6
	v_fma_f16 v6, v7, s8, v6
	v_fma_f16 v3, v5, s9, -v3
	v_fma_f16 v5, v94, s11, -v92
	;; [unrolled: 1-line block ×3, first 2 shown]
	v_fma_f16 v137, v93, s7, v137
	v_fma_f16 v138, v133, s7, v138
	v_add_f16_e32 v139, v139, v0
	v_add_f16_e32 v140, v140, v4
	;; [unrolled: 1-line block ×6, first 2 shown]
	v_fma_f16 v3, v89, s10, v5
	v_fma_f16 v4, v95, s10, v7
	v_fma_f16 v137, v89, s10, v137
	v_fma_f16 v138, v95, s10, v138
	v_fma_f16 v93, v93, s2, v92
	v_fma_f16 v133, v133, s2, v132
	v_sub_f16_e32 v5, v0, v4
	v_add_f16_e32 v0, v4, v0
	v_add_f16_e32 v4, v3, v1
	v_sub_f16_e32 v1, v1, v3
	v_pack_b32_f16 v152, v152, v154
	v_add_f16_e32 v141, v138, v139
	v_sub_f16_e32 v142, v140, v137
	v_fma_f16 v93, v89, s10, v93
	v_fma_f16 v133, v95, s10, v133
	v_pack_b32_f16 v0, v0, v1
	v_pack_b32_f16 v1, v5, v4
	ds_write2_b32 v255, v152, v149 offset0:1 offset1:2
	v_pack_b32_f16 v141, v141, v142
	v_add_f16_e32 v142, v2, v133
	ds_write2_b32 v211, v1, v0 offset0:3 offset1:4
	v_sub_f16_e32 v0, v139, v138
	v_add_f16_e32 v1, v137, v140
	v_sub_f16_e32 v2, v2, v133
	v_add_f16_e32 v3, v93, v6
	v_pack_b32_f16 v2, v2, v3
	v_pack_b32_f16 v0, v0, v1
	ds_write2_b32 v211, v0, v2 offset0:5 offset1:6
	v_lshlrev_b32_e32 v0, 16, v136
	v_or_b32_e32 v0, v0, v135
	v_sub_f16_e32 v2, v188, v178
	ds_write_b32 v211, v0
	v_add_f16_e32 v0, v237, v188
	v_sub_f16_e32 v1, v237, v188
	v_sub_f16_e32 v3, v178, v237
	v_add_f16_e32 v4, v238, v192
	v_mul_f16_e32 v2, 0x3a52, v2
	v_sub_f16_e32 v144, v6, v93
	v_add_f16_e32 v0, v178, v0
	v_sub_f16_e32 v6, v192, v180
	v_sub_f16_e32 v7, v180, v238
	v_add_f16_e32 v4, v180, v4
	v_sub_f16_e32 v92, v184, v145
	v_sub_f16_e32 v132, v186, v143
	v_fma_f16 v138, v1, s3, -v2
	v_fma_f16 v2, v3, s8, v2
	v_mul_f16_e32 v3, 0x2b26, v3
	v_sub_f16_e32 v5, v238, v192
	v_add_f16_e32 v89, v184, v145
	v_sub_f16_e32 v94, v145, v158
	v_add_f16_e32 v95, v186, v143
	v_sub_f16_e32 v134, v143, v194
	v_mul_f16_e32 v6, 0x3a52, v6
	v_add_f16_e32 v135, v0, v100
	v_add_f16_sdwa v100, v4, v100 dst_sel:DWORD dst_unused:UNUSED_PAD src0_sel:DWORD src1_sel:WORD_1
	v_mul_f16_e32 v92, 0x3846, v92
	v_mul_f16_e32 v132, 0x3846, v132
	v_fma_f16 v1, v1, s9, -v3
	v_mul_f16_e32 v3, 0x2b26, v7
	v_sub_f16_e32 v93, v158, v184
	v_add_f16_e32 v89, v89, v158
	v_sub_f16_e32 v133, v194, v186
	v_add_f16_e32 v95, v95, v194
	v_fma_f16 v0, v0, s6, v135
	v_fma_f16 v4, v4, s6, v100
	v_mul_f16_e32 v136, 0x3b00, v94
	v_mul_f16_e32 v137, 0x3b00, v134
	v_fma_f16 v139, v5, s3, -v6
	v_fma_f16 v6, v7, s8, v6
	v_fma_f16 v3, v5, s9, -v3
	v_fma_f16 v5, v94, s11, -v92
	;; [unrolled: 1-line block ×3, first 2 shown]
	v_fma_f16 v136, v93, s7, v136
	v_fma_f16 v137, v133, s7, v137
	v_add_f16_e32 v138, v138, v0
	v_add_f16_e32 v139, v139, v4
	;; [unrolled: 1-line block ×6, first 2 shown]
	v_fma_f16 v3, v89, s10, v5
	v_fma_f16 v4, v95, s10, v7
	v_pack_b32_f16 v142, v142, v144
	v_fma_f16 v136, v89, s10, v136
	v_fma_f16 v137, v95, s10, v137
	;; [unrolled: 1-line block ×4, first 2 shown]
	v_sub_f16_e32 v5, v0, v4
	v_add_f16_e32 v0, v4, v0
	v_add_f16_e32 v4, v3, v1
	v_sub_f16_e32 v1, v1, v3
	ds_write2_b32 v211, v142, v141 offset0:1 offset1:2
	v_add_f16_e32 v140, v137, v138
	v_sub_f16_e32 v141, v139, v136
	v_fma_f16 v93, v89, s10, v93
	v_fma_f16 v133, v95, s10, v133
	v_pack_b32_f16 v0, v0, v1
	v_pack_b32_f16 v1, v5, v4
	;; [unrolled: 1-line block ×3, first 2 shown]
	v_add_f16_e32 v141, v2, v133
	ds_write2_b32 v193, v1, v0 offset0:3 offset1:4
	v_sub_f16_e32 v0, v138, v137
	v_add_f16_e32 v1, v136, v139
	v_sub_f16_e32 v2, v2, v133
	v_add_f16_e32 v3, v93, v6
	v_pack_b32_f16 v2, v2, v3
	v_pack_b32_f16 v0, v0, v1
	ds_write2_b32 v193, v0, v2 offset0:5 offset1:6
	v_lshlrev_b32_e32 v0, 16, v100
	v_or_b32_e32 v0, v0, v135
	v_sub_f16_e32 v2, v87, v83
	v_add_f16_e32 v4, v241, v86
	v_sub_f16_e32 v142, v6, v93
	ds_write_b32 v193, v0
	v_add_f16_e32 v0, v243, v87
	v_sub_f16_e32 v1, v243, v87
	v_sub_f16_e32 v3, v83, v243
	;; [unrolled: 1-line block ×4, first 2 shown]
	v_add_f16_e32 v4, v82, v4
	v_add_f16_e32 v82, v81, v239
	v_mul_f16_e32 v2, 0x3a52, v2
	v_add_f16_e32 v0, v83, v0
	v_sub_f16_e32 v5, v241, v86
	v_sub_f16_e32 v83, v81, v239
	;; [unrolled: 1-line block ×4, first 2 shown]
	v_add_f16_e32 v82, v82, v85
	v_add_f16_e32 v85, v80, v146
	v_sub_f16_e32 v87, v80, v146
	v_fma_f16 v95, v1, s3, -v2
	v_fma_f16 v2, v3, s8, v2
	v_mul_f16_e32 v3, 0x2b26, v3
	v_sub_f16_e32 v80, v84, v80
	v_sub_f16_e32 v89, v146, v84
	v_add_f16_e32 v84, v85, v84
	v_add_f16_e32 v85, v0, v101
	v_add_f16_sdwa v92, v4, v101 dst_sel:DWORD dst_unused:UNUSED_PAD src0_sel:DWORD src1_sel:WORD_1
	v_mul_f16_e32 v6, 0x3a52, v6
	v_mul_f16_e32 v83, 0x3846, v83
	;; [unrolled: 1-line block ×3, first 2 shown]
	v_fma_f16 v1, v1, s9, -v3
	v_mul_f16_e32 v3, 0x2b26, v7
	v_fma_f16 v0, v0, s6, v85
	v_fma_f16 v4, v4, s6, v92
	v_mul_f16_e32 v93, 0x3b00, v86
	v_mul_f16_e32 v94, 0x3b00, v89
	v_fma_f16 v100, v5, s3, -v6
	v_fma_f16 v6, v7, s8, v6
	v_fma_f16 v3, v5, s9, -v3
	v_fma_f16 v5, v86, s11, -v83
	;; [unrolled: 1-line block ×3, first 2 shown]
	v_fma_f16 v93, v81, s7, v93
	v_fma_f16 v94, v80, s7, v94
	v_add_f16_e32 v95, v95, v0
	v_add_f16_e32 v100, v100, v4
	;; [unrolled: 1-line block ×6, first 2 shown]
	v_fma_f16 v3, v82, s10, v5
	v_fma_f16 v4, v84, s10, v7
	;; [unrolled: 1-line block ×6, first 2 shown]
	v_sub_f16_e32 v5, v0, v4
	v_add_f16_e32 v0, v4, v0
	v_add_f16_e32 v4, v3, v1
	v_sub_f16_e32 v1, v1, v3
	v_pack_b32_f16 v141, v141, v142
	v_add_f16_e32 v101, v94, v95
	v_sub_f16_e32 v132, v100, v93
	v_fma_f16 v81, v82, s10, v81
	v_fma_f16 v80, v84, s10, v80
	v_pack_b32_f16 v0, v0, v1
	v_pack_b32_f16 v1, v5, v4
	ds_write2_b32 v193, v141, v140 offset0:1 offset1:2
	v_pack_b32_f16 v101, v101, v132
	v_add_f16_e32 v132, v2, v80
	ds_write2_b32 v155, v1, v0 offset0:3 offset1:4
	v_sub_f16_e32 v0, v95, v94
	v_add_f16_e32 v1, v93, v100
	v_sub_f16_e32 v2, v2, v80
	v_add_f16_e32 v3, v81, v6
	v_pack_b32_f16 v2, v2, v3
	v_pack_b32_f16 v0, v0, v1
	ds_write2_b32 v155, v0, v2 offset0:5 offset1:6
	v_lshlrev_b32_e32 v0, 16, v92
	v_or_b32_e32 v0, v0, v85
	v_sub_f16_e32 v2, v254, v252
	ds_write_b32 v155, v0
	v_add_f16_e32 v0, v244, v254
	v_sub_f16_e32 v1, v244, v254
	v_sub_f16_e32 v3, v252, v244
	v_add_f16_e32 v4, v242, v253
	v_mul_f16_e32 v2, 0x3a52, v2
	v_sub_f16_e32 v133, v6, v81
	v_add_f16_e32 v0, v252, v0
	v_sub_f16_e32 v6, v253, v250
	v_sub_f16_e32 v7, v250, v242
	v_add_f16_e32 v4, v250, v4
	v_sub_f16_e32 v81, v249, v240
	v_sub_f16_e32 v85, v247, v147
	v_fma_f16 v94, v1, s3, -v2
	v_fma_f16 v2, v3, s8, v2
	v_mul_f16_e32 v3, 0x2b26, v3
	v_sub_f16_e32 v5, v242, v253
	v_add_f16_e32 v80, v249, v240
	v_sub_f16_e32 v83, v240, v251
	v_add_f16_e32 v84, v247, v147
	;; [unrolled: 2-line block ×3, first 2 shown]
	v_add_f16_sdwa v88, v4, v88 dst_sel:DWORD dst_unused:UNUSED_PAD src0_sel:DWORD src1_sel:WORD_1
	v_mul_f16_e32 v6, 0x3a52, v6
	v_mul_f16_e32 v81, 0x3846, v81
	;; [unrolled: 1-line block ×3, first 2 shown]
	v_fma_f16 v1, v1, s9, -v3
	v_mul_f16_e32 v3, 0x2b26, v7
	v_sub_f16_e32 v82, v251, v249
	v_add_f16_e32 v80, v80, v251
	v_sub_f16_e32 v86, v248, v247
	v_add_f16_e32 v84, v84, v248
	v_fma_f16 v0, v0, s6, v89
	v_fma_f16 v4, v4, s6, v88
	v_mul_f16_e32 v92, 0x3b00, v83
	v_mul_f16_e32 v93, 0x3b00, v87
	v_fma_f16 v95, v5, s3, -v6
	v_fma_f16 v6, v7, s8, v6
	v_fma_f16 v3, v5, s9, -v3
	v_fma_f16 v5, v83, s11, -v81
	;; [unrolled: 1-line block ×3, first 2 shown]
	v_fma_f16 v92, v82, s7, v92
	v_fma_f16 v93, v86, s7, v93
	v_add_f16_e32 v94, v94, v0
	v_add_f16_e32 v95, v95, v4
	;; [unrolled: 1-line block ×6, first 2 shown]
	v_fma_f16 v3, v80, s10, v5
	v_fma_f16 v4, v84, s10, v7
	v_pack_b32_f16 v132, v132, v133
	v_fma_f16 v92, v80, s10, v92
	v_fma_f16 v93, v84, s10, v93
	;; [unrolled: 1-line block ×4, first 2 shown]
	v_sub_f16_e32 v5, v0, v4
	v_add_f16_e32 v0, v4, v0
	v_add_f16_e32 v4, v3, v1
	v_sub_f16_e32 v1, v1, v3
	ds_write2_b32 v155, v132, v101 offset0:1 offset1:2
	v_add_f16_e32 v100, v93, v94
	v_sub_f16_e32 v101, v95, v92
	v_fma_f16 v82, v80, s10, v82
	v_fma_f16 v86, v84, s10, v86
	v_pack_b32_f16 v0, v0, v1
	v_pack_b32_f16 v1, v5, v4
	;; [unrolled: 1-line block ×3, first 2 shown]
	v_add_f16_e32 v101, v2, v86
	ds_write2_b32 v218, v1, v0 offset0:3 offset1:4
	v_sub_f16_e32 v0, v94, v93
	v_add_f16_e32 v1, v92, v95
	v_sub_f16_e32 v2, v2, v86
	v_add_f16_e32 v3, v82, v6
	v_pack_b32_f16 v2, v2, v3
	v_pack_b32_f16 v0, v0, v1
	v_sub_f16_e32 v132, v6, v82
	ds_write2_b32 v218, v0, v2 offset0:5 offset1:6
	v_lshlrev_b32_e32 v0, 16, v88
	v_pack_b32_f16 v101, v101, v132
	v_or_b32_e32 v0, v0, v89
	ds_write2_b32 v218, v101, v100 offset0:1 offset1:2
	ds_write_b32 v218, v0
	s_waitcnt lgkmcnt(0)
	; wave barrier
	s_waitcnt lgkmcnt(0)
	ds_read2_b32 v[88:89], v159 offset0:38 offset1:87
	ds_read2_b32 v[80:81], v207 offset0:174 offset1:223
	;; [unrolled: 1-line block ×3, first 2 shown]
	v_accvgpr_read_b32 v162, a62
	v_accvgpr_read_b32 v160, a61
	s_waitcnt lgkmcnt(2)
	v_lshrrev_b32_e32 v0, 16, v89
	v_mul_f16_sdwa v1, v102, v89 dst_sel:DWORD dst_unused:UNUSED_PAD src0_sel:WORD_1 src1_sel:DWORD
	v_fma_f16 v4, v102, v0, -v1
	v_mul_f16_sdwa v0, v102, v0 dst_sel:DWORD dst_unused:UNUSED_PAD src0_sel:WORD_1 src1_sel:DWORD
	v_fma_f16 v5, v102, v89, v0
	s_waitcnt lgkmcnt(1)
	v_lshrrev_b32_e32 v0, 16, v80
	v_mul_f16_sdwa v1, v103, v80 dst_sel:DWORD dst_unused:UNUSED_PAD src0_sel:WORD_1 src1_sel:DWORD
	v_fma_f16 v149, v103, v0, -v1
	v_mul_f16_sdwa v0, v103, v0 dst_sel:DWORD dst_unused:UNUSED_PAD src0_sel:WORD_1 src1_sel:DWORD
	v_fma_f16 v80, v103, v80, v0
	ds_read2_b32 v[0:1], v163 offset0:92 offset1:141
	s_waitcnt lgkmcnt(1)
	v_lshrrev_b32_e32 v2, 16, v101
	v_mul_f16_sdwa v3, v104, v101 dst_sel:DWORD dst_unused:UNUSED_PAD src0_sel:WORD_1 src1_sel:DWORD
	v_fma_f16 v152, v104, v2, -v3
	v_mul_f16_sdwa v2, v104, v2 dst_sel:DWORD dst_unused:UNUSED_PAD src0_sel:WORD_1 src1_sel:DWORD
	v_fma_f16 v154, v104, v101, v2
	s_waitcnt lgkmcnt(0)
	v_lshrrev_b32_e32 v2, 16, v0
	v_mul_f16_sdwa v3, v105, v0 dst_sel:DWORD dst_unused:UNUSED_PAD src0_sel:WORD_1 src1_sel:DWORD
	v_fma_f16 v155, v105, v2, -v3
	v_mul_f16_sdwa v2, v105, v2 dst_sel:DWORD dst_unused:UNUSED_PAD src0_sel:WORD_1 src1_sel:DWORD
	v_fma_f16 v156, v105, v0, v2
	v_lshrrev_b32_e32 v0, 16, v81
	v_mul_f16_sdwa v2, v37, v0 dst_sel:DWORD dst_unused:UNUSED_PAD src0_sel:WORD_1 src1_sel:DWORD
	v_fma_f16 v144, v37, v81, v2
	v_mul_f16_sdwa v2, v37, v81 dst_sel:DWORD dst_unused:UNUSED_PAD src0_sel:WORD_1 src1_sel:DWORD
	v_fma_f16 v145, v37, v0, -v2
	v_lshrrev_b32_e32 v0, 16, v1
	ds_read2_b32 v[2:3], v159 offset0:136 offset1:185
	v_mul_f16_sdwa v6, v39, v0 dst_sel:DWORD dst_unused:UNUSED_PAD src0_sel:WORD_1 src1_sel:DWORD
	v_fma_f16 v6, v39, v1, v6
	v_mul_f16_sdwa v1, v39, v1 dst_sel:DWORD dst_unused:UNUSED_PAD src0_sel:WORD_1 src1_sel:DWORD
	v_fma_f16 v7, v39, v0, -v1
	ds_read2_b32 v[0:1], v175 offset0:54 offset1:103
	s_waitcnt lgkmcnt(1)
	v_lshrrev_b32_e32 v37, 16, v2
	v_mul_f16_sdwa v39, v36, v2 dst_sel:DWORD dst_unused:UNUSED_PAD src0_sel:WORD_1 src1_sel:DWORD
	v_fma_f16 v95, v36, v37, -v39
	v_mul_f16_sdwa v37, v36, v37 dst_sel:DWORD dst_unused:UNUSED_PAD src0_sel:WORD_1 src1_sel:DWORD
	v_fma_f16 v218, v36, v2, v37
	s_waitcnt lgkmcnt(0)
	v_lshrrev_b32_e32 v2, 16, v0
	v_mul_f16_sdwa v36, v38, v0 dst_sel:DWORD dst_unused:UNUSED_PAD src0_sel:WORD_1 src1_sel:DWORD
	v_fma_f16 v148, v38, v2, -v36
	v_mul_f16_sdwa v2, v38, v2 dst_sel:DWORD dst_unused:UNUSED_PAD src0_sel:WORD_1 src1_sel:DWORD
	v_fma_f16 v237, v38, v0, v2
	v_lshrrev_b32_e32 v0, 16, v3
	v_mul_f16_sdwa v2, v40, v0 dst_sel:DWORD dst_unused:UNUSED_PAD src0_sel:WORD_1 src1_sel:DWORD
	v_fma_f16 v136, v40, v3, v2
	v_mul_f16_sdwa v2, v40, v3 dst_sel:DWORD dst_unused:UNUSED_PAD src0_sel:WORD_1 src1_sel:DWORD
	v_fma_f16 v137, v40, v0, -v2
	v_lshrrev_b32_e32 v0, 16, v1
	ds_read2_b32 v[2:3], v161 offset0:16 offset1:65
	v_mul_f16_sdwa v36, v42, v0 dst_sel:DWORD dst_unused:UNUSED_PAD src0_sel:WORD_1 src1_sel:DWORD
	v_fma_f16 v140, v42, v1, v36
	v_mul_f16_sdwa v1, v42, v1 dst_sel:DWORD dst_unused:UNUSED_PAD src0_sel:WORD_1 src1_sel:DWORD
	v_fma_f16 v141, v42, v0, -v1
	;; [unrolled: 24-line block ×5, first 2 shown]
	ds_read2_b32 v[0:1], v162 offset0:122 offset1:171
	s_waitcnt lgkmcnt(1)
	v_lshrrev_b32_e32 v21, 16, v2
	v_mul_f16_sdwa v23, v20, v2 dst_sel:DWORD dst_unused:UNUSED_PAD src0_sel:WORD_1 src1_sel:DWORD
	v_fma_f16 v29, v20, v21, -v23
	v_mul_f16_sdwa v21, v20, v21 dst_sel:DWORD dst_unused:UNUSED_PAD src0_sel:WORD_1 src1_sel:DWORD
	v_fma_f16 v37, v20, v2, v21
	s_waitcnt lgkmcnt(0)
	v_lshrrev_b32_e32 v2, 16, v0
	v_mul_f16_sdwa v20, v22, v0 dst_sel:DWORD dst_unused:UNUSED_PAD src0_sel:WORD_1 src1_sel:DWORD
	v_fma_f16 v28, v22, v2, -v20
	v_mul_f16_sdwa v2, v22, v2 dst_sel:DWORD dst_unused:UNUSED_PAD src0_sel:WORD_1 src1_sel:DWORD
	v_fma_f16 v30, v22, v0, v2
	v_lshrrev_b32_e32 v0, 16, v3
	v_mul_f16_sdwa v2, v16, v0 dst_sel:DWORD dst_unused:UNUSED_PAD src0_sel:WORD_1 src1_sel:DWORD
	v_fma_f16 v94, v16, v3, v2
	v_mul_f16_sdwa v2, v16, v3 dst_sel:DWORD dst_unused:UNUSED_PAD src0_sel:WORD_1 src1_sel:DWORD
	v_fma_f16 v93, v16, v0, -v2
	v_lshrrev_b32_e32 v0, 16, v100
	v_mul_f16_sdwa v2, v17, v0 dst_sel:DWORD dst_unused:UNUSED_PAD src0_sel:WORD_1 src1_sel:DWORD
	v_fma_f16 v92, v17, v100, v2
	v_mul_f16_sdwa v2, v17, v100 dst_sel:DWORD dst_unused:UNUSED_PAD src0_sel:WORD_1 src1_sel:DWORD
	v_fma_f16 v87, v17, v0, -v2
	ds_read2_b32 v[2:3], v165 offset0:130 offset1:179
	v_lshrrev_b32_e32 v0, 16, v1
	v_mul_f16_sdwa v16, v18, v0 dst_sel:DWORD dst_unused:UNUSED_PAD src0_sel:WORD_1 src1_sel:DWORD
	v_fma_f16 v86, v18, v1, v16
	v_mul_f16_sdwa v1, v18, v1 dst_sel:DWORD dst_unused:UNUSED_PAD src0_sel:WORD_1 src1_sel:DWORD
	v_fma_f16 v85, v18, v0, -v1
	s_waitcnt lgkmcnt(0)
	v_lshrrev_b32_e32 v0, 16, v2
	v_mul_f16_sdwa v1, v19, v2 dst_sel:DWORD dst_unused:UNUSED_PAD src0_sel:WORD_1 src1_sel:DWORD
	v_fma_f16 v84, v19, v0, -v1
	v_mul_f16_sdwa v0, v19, v0 dst_sel:DWORD dst_unused:UNUSED_PAD src0_sel:WORD_1 src1_sel:DWORD
	v_fma_f16 v83, v19, v2, v0
	ds_read2_b32 v[0:1], v209 offset0:10 offset1:59
	v_lshrrev_b32_e32 v2, 16, v3
	v_mul_f16_sdwa v16, v98, v2 dst_sel:DWORD dst_unused:UNUSED_PAD src0_sel:WORD_1 src1_sel:DWORD
	v_fma_f16 v16, v98, v3, v16
	v_mul_f16_sdwa v3, v98, v3 dst_sel:DWORD dst_unused:UNUSED_PAD src0_sel:WORD_1 src1_sel:DWORD
	v_fma_f16 v17, v98, v2, -v3
	s_waitcnt lgkmcnt(0)
	v_lshrrev_b32_e32 v2, 16, v0
	v_mul_f16_sdwa v3, v99, v0 dst_sel:DWORD dst_unused:UNUSED_PAD src0_sel:WORD_1 src1_sel:DWORD
	v_fma_f16 v18, v99, v2, -v3
	v_mul_f16_sdwa v2, v99, v2 dst_sel:DWORD dst_unused:UNUSED_PAD src0_sel:WORD_1 src1_sel:DWORD
	v_fma_f16 v19, v99, v0, v2
	ds_read2_b32 v[2:3], v160 offset0:100 offset1:149
	v_accvgpr_read_b32 v22, a52
	v_lshrrev_b32_e32 v0, 16, v1
	v_accvgpr_read_b32 v23, a53
	v_mul_f16_sdwa v20, v23, v0 dst_sel:DWORD dst_unused:UNUSED_PAD src0_sel:WORD_1 src1_sel:DWORD
	v_fma_f16 v246, v23, v1, v20
	v_mul_f16_sdwa v1, v23, v1 dst_sel:DWORD dst_unused:UNUSED_PAD src0_sel:WORD_1 src1_sel:DWORD
	v_fma_f16 v247, v23, v0, -v1
	s_waitcnt lgkmcnt(0)
	v_lshrrev_b32_e32 v0, 16, v2
	v_mul_f16_sdwa v1, v22, v2 dst_sel:DWORD dst_unused:UNUSED_PAD src0_sel:WORD_1 src1_sel:DWORD
	v_fma_f16 v245, v22, v0, -v1
	v_mul_f16_sdwa v0, v22, v0 dst_sel:DWORD dst_unused:UNUSED_PAD src0_sel:WORD_1 src1_sel:DWORD
	v_fma_f16 v248, v22, v2, v0
	v_lshrrev_b32_e32 v0, 16, v3
	v_accvgpr_read_b32 v20, a54
	v_mul_f16_sdwa v1, v20, v0 dst_sel:DWORD dst_unused:UNUSED_PAD src0_sel:WORD_1 src1_sel:DWORD
	v_fma_f16 v241, v20, v3, v1
	v_mul_f16_sdwa v1, v20, v3 dst_sel:DWORD dst_unused:UNUSED_PAD src0_sel:WORD_1 src1_sel:DWORD
	v_fma_f16 v242, v20, v0, -v1
	ds_read2_b32 v[0:1], v209 offset0:108 offset1:157
	v_accvgpr_read_b32 v21, a55
	v_mov_b32_e32 v158, v97
	v_add_f16_e32 v102, v5, v19
	v_add_f16_e32 v249, v80, v16
	s_waitcnt lgkmcnt(0)
	v_lshrrev_b32_e32 v2, 16, v0
	v_mul_f16_sdwa v3, v21, v0 dst_sel:DWORD dst_unused:UNUSED_PAD src0_sel:WORD_1 src1_sel:DWORD
	v_fma_f16 v243, v21, v2, -v3
	v_mul_f16_sdwa v2, v21, v2 dst_sel:DWORD dst_unused:UNUSED_PAD src0_sel:WORD_1 src1_sel:DWORD
	v_fma_f16 v244, v21, v0, v2
	v_lshrrev_b32_e32 v0, 16, v1
	v_mul_f16_sdwa v2, v111, v0 dst_sel:DWORD dst_unused:UNUSED_PAD src0_sel:WORD_1 src1_sel:DWORD
	v_fma_f16 v238, v111, v1, v2
	v_mul_f16_sdwa v1, v111, v1 dst_sel:DWORD dst_unused:UNUSED_PAD src0_sel:WORD_1 src1_sel:DWORD
	v_fma_f16 v239, v111, v0, -v1
	ds_read2_b32 v[0:1], v191 offset0:70 offset1:119
	v_add_f16_e32 v252, v149, v17
	v_sub_f16_e32 v250, v80, v16
	v_sub_f16_e32 v103, v5, v19
	;; [unrolled: 1-line block ×3, first 2 shown]
	s_waitcnt lgkmcnt(0)
	v_lshrrev_b32_e32 v2, 16, v0
	v_mul_f16_sdwa v3, v110, v0 dst_sel:DWORD dst_unused:UNUSED_PAD src0_sel:WORD_1 src1_sel:DWORD
	v_fma_f16 v111, v110, v2, -v3
	v_mul_f16_sdwa v2, v110, v2 dst_sel:DWORD dst_unused:UNUSED_PAD src0_sel:WORD_1 src1_sel:DWORD
	v_fma_f16 v240, v110, v0, v2
	v_lshrrev_b32_e32 v0, 16, v1
	v_mul_f16_sdwa v2, v108, v0 dst_sel:DWORD dst_unused:UNUSED_PAD src0_sel:WORD_1 src1_sel:DWORD
	v_fma_f16 v105, v108, v1, v2
	v_mul_f16_sdwa v1, v108, v1 dst_sel:DWORD dst_unused:UNUSED_PAD src0_sel:WORD_1 src1_sel:DWORD
	v_fma_f16 v108, v108, v0, -v1
	ds_read2_b32 v[0:1], v209 offset0:206 offset1:255
	s_waitcnt lgkmcnt(0)
	v_lshrrev_b32_e32 v2, 16, v0
	v_mul_f16_sdwa v3, v109, v0 dst_sel:DWORD dst_unused:UNUSED_PAD src0_sel:WORD_1 src1_sel:DWORD
	v_fma_f16 v110, v109, v2, -v3
	v_mul_f16_sdwa v2, v109, v2 dst_sel:DWORD dst_unused:UNUSED_PAD src0_sel:WORD_1 src1_sel:DWORD
	v_fma_f16 v109, v109, v0, v2
	v_lshrrev_b32_e32 v0, 16, v1
	v_mul_f16_sdwa v2, v107, v0 dst_sel:DWORD dst_unused:UNUSED_PAD src0_sel:WORD_1 src1_sel:DWORD
	v_fma_f16 v99, v107, v1, v2
	v_mul_f16_sdwa v1, v107, v1 dst_sel:DWORD dst_unused:UNUSED_PAD src0_sel:WORD_1 src1_sel:DWORD
	v_fma_f16 v100, v107, v0, -v1
	ds_read2_b32 v[0:1], v191 offset0:168 offset1:217
	v_add_f16_e32 v107, v4, v18
	s_waitcnt lgkmcnt(0)
	v_lshrrev_b32_e32 v2, 16, v0
	v_mul_f16_sdwa v3, v106, v0 dst_sel:DWORD dst_unused:UNUSED_PAD src0_sel:WORD_1 src1_sel:DWORD
	v_fma_f16 v98, v106, v2, -v3
	v_mul_f16_sdwa v2, v106, v2 dst_sel:DWORD dst_unused:UNUSED_PAD src0_sel:WORD_1 src1_sel:DWORD
	v_fma_f16 v104, v106, v0, v2
	v_lshrrev_b32_e32 v0, 16, v1
	v_mul_f16_sdwa v2, v234, v0 dst_sel:DWORD dst_unused:UNUSED_PAD src0_sel:WORD_1 src1_sel:DWORD
	v_fma_f16 v40, v234, v1, v2
	v_mul_f16_sdwa v1, v234, v1 dst_sel:DWORD dst_unused:UNUSED_PAD src0_sel:WORD_1 src1_sel:DWORD
	v_fma_f16 v41, v234, v0, -v1
	ds_read_b32 v0, v96 offset:9408
	v_sub_f16_e32 v106, v4, v18
	v_add_f16_e32 v4, v249, v102
	v_sub_f16_e32 v3, v155, v152
	v_sub_f16_e32 v23, v106, v3
	s_waitcnt lgkmcnt(0)
	v_lshrrev_b32_e32 v1, 16, v0
	v_mul_f16_sdwa v2, v235, v1 dst_sel:DWORD dst_unused:UNUSED_PAD src0_sel:WORD_1 src1_sel:DWORD
	v_fma_f16 v97, v235, v0, v2
	v_mul_f16_sdwa v0, v235, v0 dst_sel:DWORD dst_unused:UNUSED_PAD src0_sel:WORD_1 src1_sel:DWORD
	v_fma_f16 v157, v235, v1, -v0
	v_add_f16_e32 v0, v154, v156
	v_add_f16_e32 v2, v152, v155
	;; [unrolled: 1-line block ×5, first 2 shown]
	ds_read2_b32 v[4:5], v96 offset1:49
	v_sub_f16_e32 v1, v156, v154
	v_sub_f16_e32 v20, v0, v249
	v_sub_f16_e32 v21, v2, v252
	v_sub_f16_e32 v22, v103, v1
	s_waitcnt lgkmcnt(0)
	v_add_f16_e32 v18, v16, v4
	v_add_f16_sdwa v4, v17, v4 dst_sel:DWORD dst_unused:UNUSED_PAD src0_sel:DWORD src1_sel:WORD_1
	v_fma_f16 v253, v16, s6, v18
	v_sub_f16_e32 v16, v102, v0
	v_lshlrev_b32_e32 v19, 16, v4
	v_sub_f16_e32 v0, v107, v2
	v_add_f16_e32 v2, v1, v250
	v_mul_f16_e32 v16, 0x3a52, v16
	v_or_b32_e32 v152, v19, v18
	v_fma_f16 v4, v17, s6, v4
	v_sub_f16_e32 v17, v1, v250
	v_add_f16_e32 v1, v3, v251
	v_add_f16_e32 v255, v2, v103
	v_mul_f16_e32 v18, 0x3a52, v0
	v_fma_f16 v0, v20, s8, v16
	v_sub_f16_e32 v102, v249, v102
	v_sub_f16_e32 v103, v250, v103
	v_mul_f16_e32 v20, 0x2b26, v20
	v_sub_f16_e32 v19, v3, v251
	v_add_f16_e32 v254, v1, v106
	v_mul_f16_e32 v17, 0x3846, v17
	v_add_f16_e32 v25, v0, v253
	v_fma_f16 v0, v21, s8, v18
	v_sub_f16_e32 v106, v251, v106
	v_fma_f16 v20, v102, s9, -v20
	v_fma_f16 v16, v102, s3, -v16
	v_mul_f16_e32 v102, 0x3b00, v103
	v_mul_f16_e32 v19, 0x3846, v19
	v_add_f16_e32 v24, v0, v4
	v_fma_f16 v0, v22, s2, v17
	v_sub_f16_e32 v107, v252, v107
	v_mul_f16_e32 v21, 0x2b26, v21
	v_fma_f16 v22, v22, s7, v102
	v_mul_f16_e32 v102, 0x3b00, v106
	v_fma_f16 v80, v255, s10, v0
	v_fma_f16 v0, v23, s2, v19
	v_fma_f16 v21, v107, s9, -v21
	v_fma_f16 v18, v107, s3, -v18
	v_fma_f16 v23, v23, s7, v102
	v_fma_f16 v17, v103, s11, -v17
	v_fma_f16 v19, v106, s11, -v19
	v_add_f16_e32 v16, v16, v253
	v_add_f16_e32 v21, v21, v4
	;; [unrolled: 1-line block ×3, first 2 shown]
	v_fma_f16 v18, v255, s10, v22
	v_fma_f16 v22, v254, s10, v23
	v_add_f16_e32 v20, v20, v253
	v_fma_f16 v17, v255, s10, v17
	v_fma_f16 v19, v254, s10, v19
	v_add_f16_e32 v23, v22, v16
	v_sub_f16_e32 v102, v4, v18
	v_fma_f16 v234, v254, s10, v0
	v_pack_b32_f16 v23, v23, v102
	v_sub_f16_e32 v102, v20, v19
	v_add_f16_e32 v103, v17, v21
	v_add_f16_e32 v19, v19, v20
	v_sub_f16_e32 v17, v21, v17
	v_sub_f16_e32 v16, v16, v22
	v_add_f16_e32 v4, v18, v4
	v_add_f16_e32 v0, v234, v25
	v_sub_f16_e32 v1, v24, v80
	v_pack_b32_f16 v17, v19, v17
	v_pack_b32_f16 v4, v16, v4
	;; [unrolled: 1-line block ×3, first 2 shown]
	ds_read2_b32 v[0:1], v96 offset0:98 offset1:147
	ds_read2_b32 v[2:3], v96 offset0:196 offset1:245
	s_waitcnt lgkmcnt(0)
	; wave barrier
	s_waitcnt lgkmcnt(0)
	ds_write2_b32 v233, v17, v4 offset0:28 offset1:35
	v_sub_f16_e32 v4, v25, v234
	v_add_f16_e32 v16, v80, v24
	v_pack_b32_f16 v4, v4, v16
	v_pack_b32_f16 v102, v102, v103
	ds_write_b32 v233, v4 offset:168
	v_add_f16_e32 v4, v218, v246
	v_add_f16_e32 v17, v95, v247
	;; [unrolled: 1-line block ×4, first 2 shown]
	ds_write2_b32 v233, v23, v102 offset0:14 offset1:21
	v_add_f16_e32 v23, v237, v6
	v_add_f16_e32 v24, v148, v7
	;; [unrolled: 1-line block ×4, first 2 shown]
	v_sub_f16_e32 v20, v144, v248
	v_sub_f16_e32 v6, v6, v237
	v_add_f16_e32 v25, v23, v25
	v_add_f16_e32 v80, v24, v80
	v_sub_f16_e32 v16, v218, v246
	v_sub_f16_e32 v18, v95, v247
	;; [unrolled: 1-line block ×4, first 2 shown]
	v_add_f16_e32 v95, v25, v5
	v_add_f16_sdwa v5, v80, v5 dst_sel:DWORD dst_unused:UNUSED_PAD src0_sel:DWORD src1_sel:WORD_1
	v_add_f16_e32 v103, v6, v20
	v_sub_f16_e32 v106, v6, v20
	v_lshlrev_b32_e32 v102, 16, v5
	v_sub_f16_e32 v6, v16, v6
	v_add_f16_e32 v107, v7, v22
	v_sub_f16_e32 v144, v7, v22
	v_add_f16_e32 v103, v103, v16
	v_mul_f16_e32 v106, 0x3846, v106
	v_sub_f16_e32 v16, v20, v16
	v_or_b32_e32 v102, v102, v95
	v_fma_f16 v25, v25, s6, v95
	v_fma_f16 v5, v80, s6, v5
	v_sub_f16_e32 v80, v4, v23
	v_sub_f16_e32 v23, v23, v19
	;; [unrolled: 1-line block ×5, first 2 shown]
	v_add_f16_e32 v107, v107, v18
	v_mul_f16_e32 v144, 0x3846, v144
	v_sub_f16_e32 v17, v21, v17
	v_sub_f16_e32 v18, v22, v18
	v_fma_f16 v21, v16, s11, -v106
	v_mul_f16_e32 v16, 0x3b00, v16
	ds_write2_b32 v233, v152, v149 offset1:7
	v_mul_f16_e32 v80, 0x3a52, v80
	v_mul_f16_e32 v95, 0x3a52, v95
	v_fma_f16 v149, v6, s2, v106
	v_sub_f16_e32 v4, v19, v4
	v_mul_f16_e32 v19, 0x2b26, v23
	v_mul_f16_e32 v20, 0x2b26, v24
	v_fma_f16 v6, v6, s7, v16
	v_fma_f16 v16, v18, s11, -v144
	v_mul_f16_e32 v18, 0x3b00, v18
	v_fma_f16 v148, v24, s8, v95
	v_fma_f16 v152, v7, s2, v144
	v_fma_f16 v19, v4, s9, -v19
	v_fma_f16 v4, v4, s3, -v80
	;; [unrolled: 1-line block ×4, first 2 shown]
	v_fma_f16 v7, v7, s7, v18
	v_add_f16_e32 v148, v148, v5
	v_add_f16_e32 v18, v19, v25
	;; [unrolled: 1-line block ×5, first 2 shown]
	v_fma_f16 v6, v103, s10, v6
	v_fma_f16 v7, v107, s10, v7
	;; [unrolled: 1-line block ×4, first 2 shown]
	v_add_f16_e32 v20, v7, v4
	v_sub_f16_e32 v21, v5, v6
	v_fma_f16 v145, v23, s8, v80
	v_pack_b32_f16 v20, v20, v21
	v_sub_f16_e32 v21, v18, v16
	v_add_f16_e32 v22, v17, v19
	v_add_f16_e32 v16, v16, v18
	v_sub_f16_e32 v17, v19, v17
	v_sub_f16_e32 v4, v4, v7
	v_add_f16_e32 v5, v6, v5
	v_add_f16_e32 v145, v145, v25
	v_fma_f16 v149, v103, s10, v149
	v_fma_f16 v152, v107, s10, v152
	v_pack_b32_f16 v6, v16, v17
	v_pack_b32_f16 v4, v4, v5
	ds_write2_b32 v201, v6, v4 offset0:28 offset1:35
	v_sub_f16_e32 v4, v145, v152
	v_add_f16_e32 v5, v149, v148
	v_pack_b32_f16 v4, v4, v5
	v_pack_b32_f16 v21, v21, v22
	ds_write_b32 v201, v4 offset:168
	v_add_f16_e32 v4, v136, v244
	v_add_f16_e32 v6, v137, v243
	;; [unrolled: 1-line block ×4, first 2 shown]
	ds_write2_b32 v201, v20, v21 offset0:14 offset1:21
	v_add_f16_e32 v20, v140, v213
	v_add_f16_e32 v22, v141, v212
	;; [unrolled: 1-line block ×5, first 2 shown]
	v_sub_f16_e32 v155, v148, v149
	v_add_f16_e32 v24, v20, v24
	v_add_f16_e32 v25, v22, v25
	v_pack_b32_f16 v154, v154, v155
	v_sub_f16_e32 v17, v147, v241
	v_sub_f16_e32 v19, v146, v242
	;; [unrolled: 1-line block ×4, first 2 shown]
	v_add_f16_e32 v80, v24, v0
	v_add_f16_sdwa v0, v25, v0 dst_sel:DWORD dst_unused:UNUSED_PAD src0_sel:DWORD src1_sel:WORD_1
	ds_write2_b32 v201, v102, v154 offset1:7
	v_sub_f16_e32 v5, v136, v244
	v_sub_f16_e32 v7, v137, v243
	v_lshlrev_b32_e32 v95, 16, v0
	v_add_f16_e32 v102, v21, v17
	v_sub_f16_e32 v103, v21, v17
	v_add_f16_e32 v106, v23, v19
	v_sub_f16_e32 v107, v23, v19
	v_or_b32_e32 v95, v95, v80
	v_fma_f16 v24, v24, s6, v80
	v_fma_f16 v0, v25, s6, v0
	v_sub_f16_e32 v25, v4, v20
	v_sub_f16_e32 v20, v20, v16
	;; [unrolled: 1-line block ×6, first 2 shown]
	v_add_f16_e32 v102, v102, v5
	v_add_f16_e32 v106, v106, v7
	v_mul_f16_e32 v103, 0x3846, v103
	v_mul_f16_e32 v107, 0x3846, v107
	v_sub_f16_e32 v5, v17, v5
	v_sub_f16_e32 v7, v19, v7
	v_mul_f16_e32 v25, 0x3a52, v25
	v_mul_f16_e32 v80, 0x3a52, v80
	v_sub_f16_e32 v4, v16, v4
	v_sub_f16_e32 v6, v18, v6
	v_mul_f16_e32 v16, 0x2b26, v20
	v_mul_f16_e32 v17, 0x2b26, v22
	v_fma_f16 v18, v5, s11, -v103
	v_mul_f16_e32 v5, 0x3b00, v5
	v_fma_f16 v19, v7, s11, -v107
	v_mul_f16_e32 v7, 0x3b00, v7
	v_fma_f16 v137, v22, s8, v80
	v_fma_f16 v16, v4, s9, -v16
	v_fma_f16 v4, v4, s3, -v25
	;; [unrolled: 1-line block ×4, first 2 shown]
	v_fma_f16 v5, v21, s7, v5
	v_fma_f16 v7, v23, s7, v7
	v_add_f16_e32 v137, v137, v0
	v_add_f16_e32 v4, v4, v24
	;; [unrolled: 1-line block ×4, first 2 shown]
	v_fma_f16 v5, v102, s10, v5
	v_fma_f16 v7, v106, s10, v7
	;; [unrolled: 1-line block ×3, first 2 shown]
	v_add_f16_e32 v16, v16, v24
	v_fma_f16 v6, v102, s10, v18
	v_fma_f16 v18, v106, s10, v19
	v_add_f16_e32 v19, v7, v4
	v_sub_f16_e32 v20, v0, v5
	v_fma_f16 v140, v21, s2, v103
	v_fma_f16 v141, v23, s2, v107
	v_pack_b32_f16 v19, v19, v20
	v_sub_f16_e32 v20, v16, v18
	v_add_f16_e32 v21, v6, v17
	v_add_f16_e32 v16, v18, v16
	v_sub_f16_e32 v6, v17, v6
	v_sub_f16_e32 v4, v4, v7
	v_add_f16_e32 v0, v5, v0
	v_add_f16_e32 v136, v136, v24
	v_fma_f16 v140, v102, s10, v140
	v_fma_f16 v141, v106, s10, v141
	v_pack_b32_f16 v5, v16, v6
	v_pack_b32_f16 v0, v4, v0
	ds_write2_b32 v179, v5, v0 offset0:28 offset1:35
	v_sub_f16_e32 v0, v136, v141
	v_add_f16_e32 v4, v140, v137
	v_pack_b32_f16 v0, v0, v4
	v_pack_b32_f16 v20, v20, v21
	ds_write_b32 v179, v0 offset:168
	v_add_f16_e32 v0, v142, v238
	v_add_f16_e32 v5, v138, v239
	;; [unrolled: 1-line block ×4, first 2 shown]
	ds_write2_b32 v179, v19, v20 offset0:14 offset1:21
	v_add_f16_e32 v19, v143, v134
	v_add_f16_e32 v21, v139, v135
	;; [unrolled: 1-line block ×5, first 2 shown]
	v_sub_f16_e32 v145, v137, v140
	v_add_f16_e32 v23, v19, v23
	v_add_f16_e32 v24, v21, v24
	v_pack_b32_f16 v144, v144, v145
	v_sub_f16_e32 v16, v42, v240
	v_sub_f16_e32 v18, v43, v111
	v_sub_f16_e32 v20, v134, v143
	v_sub_f16_e32 v22, v135, v139
	v_add_f16_e32 v25, v23, v1
	v_add_f16_sdwa v1, v24, v1 dst_sel:DWORD dst_unused:UNUSED_PAD src0_sel:DWORD src1_sel:WORD_1
	ds_write2_b32 v179, v95, v144 offset1:7
	v_sub_f16_e32 v4, v142, v238
	v_sub_f16_e32 v6, v138, v239
	v_lshlrev_b32_e32 v42, 16, v1
	v_add_f16_e32 v43, v20, v16
	v_sub_f16_e32 v80, v20, v16
	v_add_f16_e32 v95, v22, v18
	v_sub_f16_e32 v102, v22, v18
	v_or_b32_e32 v42, v42, v25
	v_fma_f16 v23, v23, s6, v25
	v_fma_f16 v1, v24, s6, v1
	v_sub_f16_e32 v24, v0, v19
	v_sub_f16_e32 v19, v19, v7
	v_sub_f16_e32 v25, v5, v21
	v_sub_f16_e32 v21, v21, v17
	v_sub_f16_e32 v20, v4, v20
	v_sub_f16_e32 v22, v6, v22
	v_add_f16_e32 v43, v43, v4
	v_add_f16_e32 v95, v95, v6
	v_mul_f16_e32 v80, 0x3846, v80
	v_mul_f16_e32 v102, 0x3846, v102
	v_sub_f16_e32 v4, v16, v4
	v_sub_f16_e32 v6, v18, v6
	v_mul_f16_e32 v24, 0x3a52, v24
	v_mul_f16_e32 v25, 0x3a52, v25
	v_sub_f16_e32 v0, v7, v0
	v_sub_f16_e32 v5, v17, v5
	v_mul_f16_e32 v7, 0x2b26, v19
	v_mul_f16_e32 v16, 0x2b26, v21
	v_fma_f16 v17, v4, s11, -v80
	v_mul_f16_e32 v4, 0x3b00, v4
	v_fma_f16 v18, v6, s11, -v102
	v_mul_f16_e32 v6, 0x3b00, v6
	v_fma_f16 v106, v21, s8, v25
	v_fma_f16 v7, v0, s9, -v7
	v_fma_f16 v0, v0, s3, -v24
	;; [unrolled: 1-line block ×4, first 2 shown]
	v_fma_f16 v4, v20, s7, v4
	v_fma_f16 v6, v22, s7, v6
	v_add_f16_e32 v106, v106, v1
	v_add_f16_e32 v0, v0, v23
	;; [unrolled: 1-line block ×4, first 2 shown]
	v_fma_f16 v4, v43, s10, v4
	v_fma_f16 v6, v95, s10, v6
	;; [unrolled: 1-line block ×3, first 2 shown]
	v_add_f16_e32 v7, v7, v23
	v_fma_f16 v5, v43, s10, v17
	v_fma_f16 v17, v95, s10, v18
	v_add_f16_e32 v18, v6, v0
	v_sub_f16_e32 v19, v1, v4
	v_fma_f16 v107, v20, s2, v80
	v_fma_f16 v111, v22, s2, v102
	v_pack_b32_f16 v18, v18, v19
	v_sub_f16_e32 v19, v7, v17
	v_add_f16_e32 v20, v5, v16
	v_add_f16_e32 v7, v17, v7
	v_sub_f16_e32 v5, v16, v5
	v_sub_f16_e32 v0, v0, v6
	v_add_f16_e32 v1, v4, v1
	v_add_f16_e32 v103, v103, v23
	v_fma_f16 v107, v43, s10, v107
	v_fma_f16 v111, v95, s10, v111
	v_pack_b32_f16 v4, v7, v5
	v_pack_b32_f16 v0, v0, v1
	ds_write2_b32 v223, v4, v0 offset0:28 offset1:35
	v_sub_f16_e32 v0, v103, v111
	v_add_f16_e32 v1, v107, v106
	v_pack_b32_f16 v0, v0, v1
	v_pack_b32_f16 v19, v19, v20
	ds_write_b32 v223, v0 offset:168
	v_add_f16_e32 v0, v31, v109
	v_add_f16_e32 v4, v36, v110
	;; [unrolled: 1-line block ×4, first 2 shown]
	ds_write2_b32 v223, v18, v19 offset0:14 offset1:21
	v_add_f16_e32 v18, v38, v133
	v_add_f16_e32 v20, v39, v132
	;; [unrolled: 1-line block ×6, first 2 shown]
	v_sub_f16_e32 v7, v101, v105
	v_sub_f16_e32 v17, v89, v108
	;; [unrolled: 1-line block ×4, first 2 shown]
	v_add_f16_e32 v24, v22, v2
	v_add_f16_sdwa v2, v23, v2 dst_sel:DWORD dst_unused:UNUSED_PAD src0_sel:DWORD src1_sel:WORD_1
	v_sub_f16_e32 v1, v31, v109
	v_sub_f16_e32 v5, v36, v110
	v_lshlrev_b32_e32 v25, 16, v2
	v_add_f16_e32 v31, v19, v7
	v_sub_f16_e32 v36, v19, v7
	v_add_f16_e32 v38, v21, v17
	v_sub_f16_e32 v39, v21, v17
	v_or_b32_e32 v25, v25, v24
	v_fma_f16 v22, v22, s6, v24
	v_fma_f16 v2, v23, s6, v2
	v_sub_f16_e32 v23, v0, v18
	v_sub_f16_e32 v18, v18, v6
	;; [unrolled: 1-line block ×6, first 2 shown]
	v_add_f16_e32 v31, v31, v1
	v_add_f16_e32 v38, v38, v5
	v_mul_f16_e32 v36, 0x3846, v36
	v_mul_f16_e32 v39, 0x3846, v39
	v_sub_f16_e32 v1, v7, v1
	v_sub_f16_e32 v5, v17, v5
	v_mul_f16_e32 v23, 0x3a52, v23
	v_mul_f16_e32 v24, 0x3a52, v24
	v_sub_f16_e32 v0, v6, v0
	v_sub_f16_e32 v4, v16, v4
	v_mul_f16_e32 v6, 0x2b26, v18
	v_mul_f16_e32 v7, 0x2b26, v20
	v_fma_f16 v16, v1, s11, -v36
	v_mul_f16_e32 v1, 0x3b00, v1
	v_fma_f16 v17, v5, s11, -v39
	v_mul_f16_e32 v5, 0x3b00, v5
	v_add_f16_e32 v134, v111, v103
	v_sub_f16_e32 v135, v106, v107
	v_fma_f16 v43, v20, s8, v24
	v_fma_f16 v6, v0, s9, -v6
	v_fma_f16 v0, v0, s3, -v23
	;; [unrolled: 1-line block ×4, first 2 shown]
	v_fma_f16 v1, v19, s7, v1
	v_fma_f16 v5, v21, s7, v5
	v_pack_b32_f16 v134, v134, v135
	v_add_f16_e32 v43, v43, v2
	v_add_f16_e32 v0, v0, v22
	;; [unrolled: 1-line block ×4, first 2 shown]
	v_fma_f16 v1, v31, s10, v1
	v_fma_f16 v5, v38, s10, v5
	ds_write2_b32 v223, v42, v134 offset1:7
	v_fma_f16 v42, v18, s8, v23
	v_add_f16_e32 v6, v6, v22
	v_fma_f16 v4, v31, s10, v16
	v_fma_f16 v16, v38, s10, v17
	v_add_f16_e32 v17, v5, v0
	v_sub_f16_e32 v18, v2, v1
	v_fma_f16 v80, v19, s2, v36
	v_fma_f16 v89, v21, s2, v39
	v_pack_b32_f16 v17, v17, v18
	v_sub_f16_e32 v18, v6, v16
	v_add_f16_e32 v19, v4, v7
	v_add_f16_e32 v6, v16, v6
	v_sub_f16_e32 v4, v7, v4
	v_sub_f16_e32 v0, v0, v5
	v_add_f16_e32 v1, v1, v2
	v_add_f16_e32 v42, v42, v22
	v_fma_f16 v80, v31, s10, v80
	v_fma_f16 v89, v38, s10, v89
	v_pack_b32_f16 v2, v6, v4
	v_pack_b32_f16 v0, v0, v1
	ds_write2_b32 v205, v2, v0 offset0:28 offset1:35
	v_sub_f16_e32 v0, v42, v89
	v_add_f16_e32 v1, v80, v43
	v_pack_b32_f16 v0, v0, v1
	v_pack_b32_f16 v18, v18, v19
	ds_write_b32 v205, v0 offset:168
	v_add_f16_e32 v0, v37, v99
	v_add_f16_e32 v2, v29, v100
	;; [unrolled: 1-line block ×4, first 2 shown]
	ds_write2_b32 v205, v17, v18 offset0:14 offset1:21
	v_add_f16_e32 v17, v30, v26
	v_add_f16_e32 v19, v28, v27
	;; [unrolled: 1-line block ×5, first 2 shown]
	v_sub_f16_e32 v101, v43, v80
	v_add_f16_e32 v21, v17, v21
	v_add_f16_e32 v22, v19, v22
	v_pack_b32_f16 v95, v95, v101
	v_sub_f16_e32 v6, v81, v104
	v_sub_f16_e32 v16, v82, v98
	;; [unrolled: 1-line block ×4, first 2 shown]
	v_add_f16_e32 v23, v21, v3
	v_add_f16_sdwa v3, v22, v3 dst_sel:DWORD dst_unused:UNUSED_PAD src0_sel:DWORD src1_sel:WORD_1
	ds_write2_b32 v205, v25, v95 offset1:7
	v_sub_f16_e32 v1, v37, v99
	v_sub_f16_e32 v4, v29, v100
	v_lshlrev_b32_e32 v24, 16, v3
	v_add_f16_e32 v25, v18, v6
	v_sub_f16_e32 v26, v18, v6
	v_add_f16_e32 v27, v20, v16
	v_sub_f16_e32 v28, v20, v16
	v_or_b32_e32 v24, v24, v23
	v_fma_f16 v21, v21, s6, v23
	v_fma_f16 v3, v22, s6, v3
	v_sub_f16_e32 v22, v0, v17
	v_sub_f16_e32 v17, v17, v5
	;; [unrolled: 1-line block ×6, first 2 shown]
	v_add_f16_e32 v25, v25, v1
	v_add_f16_e32 v27, v27, v4
	v_mul_f16_e32 v26, 0x3846, v26
	v_mul_f16_e32 v28, 0x3846, v28
	v_sub_f16_e32 v1, v6, v1
	v_sub_f16_e32 v4, v16, v4
	v_mul_f16_e32 v22, 0x3a52, v22
	v_mul_f16_e32 v23, 0x3a52, v23
	v_sub_f16_e32 v0, v5, v0
	v_sub_f16_e32 v2, v7, v2
	v_mul_f16_e32 v5, 0x2b26, v17
	v_mul_f16_e32 v6, 0x2b26, v19
	v_fma_f16 v7, v1, s11, -v26
	v_mul_f16_e32 v1, 0x3b00, v1
	v_fma_f16 v16, v4, s11, -v28
	;; [unrolled: 2-line block ×3, first 2 shown]
	v_fma_f16 v0, v0, s3, -v22
	v_fma_f16 v6, v2, s9, -v6
	;; [unrolled: 1-line block ×3, first 2 shown]
	v_fma_f16 v1, v18, s7, v1
	v_fma_f16 v4, v20, s7, v4
	;; [unrolled: 1-line block ×3, first 2 shown]
	v_add_f16_e32 v0, v0, v21
	v_add_f16_e32 v2, v2, v3
	v_fma_f16 v1, v25, s10, v1
	v_fma_f16 v4, v27, s10, v4
	;; [unrolled: 1-line block ×3, first 2 shown]
	v_add_f16_e32 v30, v30, v3
	v_add_f16_e32 v5, v5, v21
	v_add_f16_e32 v6, v6, v3
	v_fma_f16 v3, v25, s10, v7
	v_fma_f16 v7, v27, s10, v16
	v_add_f16_e32 v16, v4, v0
	v_sub_f16_e32 v17, v2, v1
	v_fma_f16 v31, v18, s2, v26
	v_fma_f16 v36, v20, s2, v28
	v_pack_b32_f16 v16, v16, v17
	v_sub_f16_e32 v17, v5, v7
	v_add_f16_e32 v18, v3, v6
	v_add_f16_e32 v5, v7, v5
	v_sub_f16_e32 v3, v6, v3
	v_sub_f16_e32 v0, v0, v4
	v_add_f16_e32 v1, v1, v2
	v_add_f16_e32 v29, v29, v21
	v_fma_f16 v31, v25, s10, v31
	v_fma_f16 v36, v27, s10, v36
	v_pack_b32_f16 v2, v5, v3
	v_pack_b32_f16 v0, v0, v1
	ds_write2_b32 v171, v2, v0 offset0:28 offset1:35
	v_sub_f16_e32 v0, v29, v36
	v_add_f16_e32 v1, v31, v30
	v_pack_b32_f16 v0, v0, v1
	v_add_f16_e32 v2, v93, v157
	v_add_f16_e32 v6, v87, v41
	v_pack_b32_f16 v17, v17, v18
	ds_write_b32 v171, v0 offset:168
	v_add_f16_e32 v0, v94, v97
	v_add_f16_e32 v4, v92, v40
	;; [unrolled: 1-line block ×5, first 2 shown]
	v_sub_f16_e32 v38, v30, v31
	ds_write2_b32 v171, v16, v17 offset0:14 offset1:21
	v_add_f16_e32 v16, v86, v83
	v_add_f16_e32 v20, v4, v0
	;; [unrolled: 1-line block ×3, first 2 shown]
	v_pack_b32_f16 v37, v37, v38
	v_sub_f16_e32 v5, v92, v40
	v_sub_f16_e32 v7, v87, v41
	;; [unrolled: 1-line block ×4, first 2 shown]
	v_add_f16_e32 v20, v16, v20
	v_add_f16_sdwa v23, v21, v88 dst_sel:DWORD dst_unused:UNUSED_PAD src0_sel:DWORD src1_sel:WORD_1
	ds_write2_b32 v171, v24, v37 offset1:7
	v_sub_f16_e32 v1, v94, v97
	v_sub_f16_e32 v3, v93, v157
	v_add_f16_e32 v22, v20, v88
	v_lshlrev_b32_e32 v24, 16, v23
	v_add_f16_e32 v25, v17, v5
	v_sub_f16_e32 v26, v17, v5
	v_add_f16_e32 v27, v19, v7
	v_sub_f16_e32 v28, v19, v7
	v_or_b32_e32 v24, v24, v22
	v_fma_f16 v20, v20, s6, v22
	v_fma_f16 v21, v21, s6, v23
	v_sub_f16_e32 v22, v0, v16
	v_sub_f16_e32 v16, v16, v4
	;; [unrolled: 1-line block ×6, first 2 shown]
	v_add_f16_e32 v25, v25, v1
	v_add_f16_e32 v27, v27, v3
	v_mul_f16_e32 v26, 0x3846, v26
	v_mul_f16_e32 v28, 0x3846, v28
	v_sub_f16_e32 v1, v5, v1
	v_sub_f16_e32 v3, v7, v3
	v_mul_f16_e32 v22, 0x3a52, v22
	v_mul_f16_e32 v23, 0x3a52, v23
	v_sub_f16_e32 v0, v4, v0
	v_sub_f16_e32 v2, v6, v2
	v_mul_f16_e32 v4, 0x2b26, v16
	v_mul_f16_e32 v5, 0x2b26, v18
	v_fma_f16 v6, v1, s11, -v26
	v_mul_f16_e32 v1, 0x3b00, v1
	v_fma_f16 v7, v3, s11, -v28
	;; [unrolled: 2-line block ×3, first 2 shown]
	v_fma_f16 v0, v0, s3, -v22
	v_fma_f16 v5, v2, s9, -v5
	;; [unrolled: 1-line block ×3, first 2 shown]
	v_fma_f16 v1, v17, s7, v1
	v_fma_f16 v3, v19, s7, v3
	v_add_f16_e32 v0, v0, v20
	v_add_f16_e32 v2, v2, v21
	v_fma_f16 v1, v25, s10, v1
	v_fma_f16 v3, v27, s10, v3
	;; [unrolled: 1-line block ×4, first 2 shown]
	v_add_f16_e32 v4, v4, v20
	v_add_f16_e32 v5, v5, v21
	v_fma_f16 v6, v25, s10, v6
	v_fma_f16 v7, v27, s10, v7
	v_add_f16_e32 v16, v3, v0
	v_sub_f16_e32 v17, v2, v1
	v_fma_f16 v30, v18, s8, v23
	v_fma_f16 v36, v19, s2, v28
	v_pack_b32_f16 v16, v16, v17
	v_sub_f16_e32 v17, v4, v7
	v_add_f16_e32 v18, v6, v5
	v_add_f16_e32 v4, v7, v4
	v_sub_f16_e32 v5, v5, v6
	v_sub_f16_e32 v0, v0, v3
	v_add_f16_e32 v1, v1, v2
	v_add_f16_e32 v29, v29, v20
	;; [unrolled: 1-line block ×3, first 2 shown]
	v_fma_f16 v31, v25, s10, v31
	v_fma_f16 v36, v27, s10, v36
	v_pack_b32_f16 v2, v4, v5
	v_pack_b32_f16 v0, v0, v1
	v_add_f16_e32 v37, v36, v29
	v_sub_f16_e32 v38, v30, v31
	ds_write2_b32 v227, v2, v0 offset0:28 offset1:35
	v_sub_f16_e32 v0, v29, v36
	v_add_f16_e32 v1, v31, v30
	v_pack_b32_f16 v37, v37, v38
	v_pack_b32_f16 v17, v17, v18
	;; [unrolled: 1-line block ×3, first 2 shown]
	ds_write2_b32 v227, v24, v37 offset1:7
	ds_write2_b32 v227, v16, v17 offset0:14 offset1:21
	ds_write_b32 v227, v0 offset:168
	s_waitcnt lgkmcnt(0)
	; wave barrier
	s_waitcnt lgkmcnt(0)
	ds_read2_b32 v[0:1], v207 offset0:174 offset1:223
	s_waitcnt lgkmcnt(0)
	v_lshrrev_b32_e32 v2, 16, v0
	v_mul_f16_sdwa v3, v13, v0 dst_sel:DWORD dst_unused:UNUSED_PAD src0_sel:WORD_1 src1_sel:DWORD
	v_fma_f16 v136, v13, v2, -v3
	v_mul_f16_sdwa v2, v13, v2 dst_sel:DWORD dst_unused:UNUSED_PAD src0_sel:WORD_1 src1_sel:DWORD
	v_fma_f16 v137, v13, v0, v2
	ds_read2_b32 v[2:3], v163 offset0:92 offset1:141
	v_lshrrev_b32_e32 v0, 16, v1
	v_mul_f16_sdwa v4, v13, v0 dst_sel:DWORD dst_unused:UNUSED_PAD src0_sel:WORD_1 src1_sel:DWORD
	v_fma_f16 v39, v13, v1, v4
	v_mul_f16_sdwa v1, v13, v1 dst_sel:DWORD dst_unused:UNUSED_PAD src0_sel:WORD_1 src1_sel:DWORD
	v_fma_f16 v40, v13, v0, -v1
	s_waitcnt lgkmcnt(0)
	v_lshrrev_b32_e32 v0, 16, v2
	v_mul_f16_sdwa v1, v15, v2 dst_sel:DWORD dst_unused:UNUSED_PAD src0_sel:WORD_1 src1_sel:DWORD
	v_fma_f16 v13, v15, v0, -v1
	v_mul_f16_sdwa v0, v15, v0 dst_sel:DWORD dst_unused:UNUSED_PAD src0_sel:WORD_1 src1_sel:DWORD
	v_fma_f16 v80, v15, v2, v0
	v_lshrrev_b32_e32 v2, 16, v3
	ds_read2_b32 v[0:1], v159 offset0:38 offset1:87
	v_mul_f16_sdwa v4, v15, v2 dst_sel:DWORD dst_unused:UNUSED_PAD src0_sel:WORD_1 src1_sel:DWORD
	v_fma_f16 v85, v15, v3, v4
	v_mul_f16_sdwa v3, v15, v3 dst_sel:DWORD dst_unused:UNUSED_PAD src0_sel:WORD_1 src1_sel:DWORD
	v_fma_f16 v88, v15, v2, -v3
	ds_read2_b32 v[2:3], v158 offset0:84 offset1:133
	s_waitcnt lgkmcnt(1)
	v_lshrrev_b32_e32 v4, 16, v1
	v_mul_f16_sdwa v5, v12, v1 dst_sel:DWORD dst_unused:UNUSED_PAD src0_sel:WORD_1 src1_sel:DWORD
	v_fma_f16 v81, v12, v4, -v5
	v_mul_f16_sdwa v4, v12, v4 dst_sel:DWORD dst_unused:UNUSED_PAD src0_sel:WORD_1 src1_sel:DWORD
	v_fma_f16 v82, v12, v1, v4
	ds_read2_b32 v[4:5], v159 offset0:136 offset1:185
	s_waitcnt lgkmcnt(1)
	v_lshrrev_b32_e32 v1, 16, v3
	v_mul_f16_sdwa v6, v14, v3 dst_sel:DWORD dst_unused:UNUSED_PAD src0_sel:WORD_1 src1_sel:DWORD
	v_fma_f16 v83, v14, v1, -v6
	ds_read2_b32 v[6:7], v175 offset0:54 offset1:103
	v_mul_f16_sdwa v1, v14, v1 dst_sel:DWORD dst_unused:UNUSED_PAD src0_sel:WORD_1 src1_sel:DWORD
	v_fma_f16 v84, v14, v3, v1
	s_waitcnt lgkmcnt(1)
	v_lshrrev_b32_e32 v1, 16, v4
	v_mul_f16_sdwa v3, v12, v4 dst_sel:DWORD dst_unused:UNUSED_PAD src0_sel:WORD_1 src1_sel:DWORD
	v_fma_f16 v101, v12, v1, -v3
	v_mul_f16_sdwa v1, v12, v1 dst_sel:DWORD dst_unused:UNUSED_PAD src0_sel:WORD_1 src1_sel:DWORD
	v_fma_f16 v102, v12, v4, v1
	s_waitcnt lgkmcnt(0)
	v_lshrrev_b32_e32 v1, 16, v6
	v_mul_f16_sdwa v3, v14, v6 dst_sel:DWORD dst_unused:UNUSED_PAD src0_sel:WORD_1 src1_sel:DWORD
	v_fma_f16 v103, v14, v1, -v3
	v_mul_f16_sdwa v1, v14, v1 dst_sel:DWORD dst_unused:UNUSED_PAD src0_sel:WORD_1 src1_sel:DWORD
	v_fma_f16 v104, v14, v6, v1
	v_lshrrev_b32_e32 v1, 16, v5
	v_mul_f16_sdwa v3, v56, v1 dst_sel:DWORD dst_unused:UNUSED_PAD src0_sel:WORD_1 src1_sel:DWORD
	v_fma_f16 v89, v56, v5, v3
	v_mul_f16_sdwa v3, v56, v5 dst_sel:DWORD dst_unused:UNUSED_PAD src0_sel:WORD_1 src1_sel:DWORD
	v_fma_f16 v56, v56, v1, -v3
	v_lshrrev_b32_e32 v1, 16, v7
	ds_read2_b32 v[4:5], v161 offset0:16 offset1:65
	v_mul_f16_sdwa v3, v58, v1 dst_sel:DWORD dst_unused:UNUSED_PAD src0_sel:WORD_1 src1_sel:DWORD
	v_fma_f16 v95, v58, v7, v3
	v_mul_f16_sdwa v3, v58, v7 dst_sel:DWORD dst_unused:UNUSED_PAD src0_sel:WORD_1 src1_sel:DWORD
	ds_read2_b32 v[6:7], v163 offset0:190 offset1:239
	v_fma_f16 v58, v58, v1, -v3
	s_waitcnt lgkmcnt(1)
	v_lshrrev_b32_e32 v1, 16, v4
	v_mul_f16_sdwa v3, v57, v4 dst_sel:DWORD dst_unused:UNUSED_PAD src0_sel:WORD_1 src1_sel:DWORD
	v_fma_f16 v140, v57, v1, -v3
	v_mul_f16_sdwa v1, v57, v1 dst_sel:DWORD dst_unused:UNUSED_PAD src0_sel:WORD_1 src1_sel:DWORD
	v_fma_f16 v98, v57, v4, v1
	s_waitcnt lgkmcnt(0)
	v_lshrrev_b32_e32 v1, 16, v6
	v_mul_f16_sdwa v3, v59, v6 dst_sel:DWORD dst_unused:UNUSED_PAD src0_sel:WORD_1 src1_sel:DWORD
	v_fma_f16 v99, v59, v1, -v3
	v_mul_f16_sdwa v1, v59, v1 dst_sel:DWORD dst_unused:UNUSED_PAD src0_sel:WORD_1 src1_sel:DWORD
	v_fma_f16 v100, v59, v6, v1
	v_lshrrev_b32_e32 v1, 16, v5
	v_mul_f16_sdwa v3, v53, v1 dst_sel:DWORD dst_unused:UNUSED_PAD src0_sel:WORD_1 src1_sel:DWORD
	v_fma_f16 v37, v53, v5, v3
	v_mul_f16_sdwa v3, v53, v5 dst_sel:DWORD dst_unused:UNUSED_PAD src0_sel:WORD_1 src1_sel:DWORD
	v_fma_f16 v38, v53, v1, -v3
	v_lshrrev_b32_e32 v1, 16, v7
	ds_read2_b32 v[4:5], v173 offset0:106 offset1:155
	v_mul_f16_sdwa v3, v55, v1 dst_sel:DWORD dst_unused:UNUSED_PAD src0_sel:WORD_1 src1_sel:DWORD
	v_fma_f16 v53, v55, v7, v3
	v_mul_f16_sdwa v3, v55, v7 dst_sel:DWORD dst_unused:UNUSED_PAD src0_sel:WORD_1 src1_sel:DWORD
	ds_read2_b32 v[6:7], v175 offset0:152 offset1:201
	v_fma_f16 v55, v55, v1, -v3
	;; [unrolled: 24-line block ×4, first 2 shown]
	s_waitcnt lgkmcnt(1)
	v_lshrrev_b32_e32 v1, 16, v4
	v_mul_f16_sdwa v3, v44, v4 dst_sel:DWORD dst_unused:UNUSED_PAD src0_sel:WORD_1 src1_sel:DWORD
	v_fma_f16 v27, v44, v1, -v3
	v_mul_f16_sdwa v1, v44, v1 dst_sel:DWORD dst_unused:UNUSED_PAD src0_sel:WORD_1 src1_sel:DWORD
	v_fma_f16 v31, v44, v4, v1
	s_waitcnt lgkmcnt(0)
	v_lshrrev_b32_e32 v1, 16, v6
	v_mul_f16_sdwa v3, v46, v6 dst_sel:DWORD dst_unused:UNUSED_PAD src0_sel:WORD_1 src1_sel:DWORD
	v_fma_f16 v28, v46, v1, -v3
	v_mul_f16_sdwa v1, v46, v1 dst_sel:DWORD dst_unused:UNUSED_PAD src0_sel:WORD_1 src1_sel:DWORD
	v_lshrrev_b32_e32 v3, 16, v5
	v_mul_f16_sdwa v4, v32, v5 dst_sel:DWORD dst_unused:UNUSED_PAD src0_sel:WORD_1 src1_sel:DWORD
	v_fma_f16 v36, v46, v6, v1
	v_mul_f16_sdwa v1, v32, v3 dst_sel:DWORD dst_unused:UNUSED_PAD src0_sel:WORD_1 src1_sel:DWORD
	v_fma_f16 v14, v32, v3, -v4
	v_lshrrev_b32_e32 v3, 16, v2
	v_mul_f16_sdwa v4, v33, v3 dst_sel:DWORD dst_unused:UNUSED_PAD src0_sel:WORD_1 src1_sel:DWORD
	v_fma_f16 v15, v33, v2, v4
	v_mul_f16_sdwa v2, v33, v2 dst_sel:DWORD dst_unused:UNUSED_PAD src0_sel:WORD_1 src1_sel:DWORD
	v_fma_f16 v16, v33, v3, -v2
	ds_read2_b32 v[2:3], v165 offset0:130 offset1:179
	v_lshrrev_b32_e32 v4, 16, v7
	v_fma_f16 v1, v32, v5, v1
	v_mul_f16_sdwa v5, v34, v4 dst_sel:DWORD dst_unused:UNUSED_PAD src0_sel:WORD_1 src1_sel:DWORD
	v_fma_f16 v17, v34, v7, v5
	v_mul_f16_sdwa v5, v34, v7 dst_sel:DWORD dst_unused:UNUSED_PAD src0_sel:WORD_1 src1_sel:DWORD
	v_fma_f16 v18, v34, v4, -v5
	s_waitcnt lgkmcnt(0)
	v_lshrrev_b32_e32 v4, 16, v2
	v_mul_f16_sdwa v5, v35, v2 dst_sel:DWORD dst_unused:UNUSED_PAD src0_sel:WORD_1 src1_sel:DWORD
	v_fma_f16 v19, v35, v4, -v5
	v_mul_f16_sdwa v4, v35, v4 dst_sel:DWORD dst_unused:UNUSED_PAD src0_sel:WORD_1 src1_sel:DWORD
	v_fma_f16 v20, v35, v2, v4
	ds_read2_b32 v[4:5], v209 offset0:10 offset1:59
	v_lshrrev_b32_e32 v2, 16, v3
	v_mul_f16_sdwa v6, v90, v2 dst_sel:DWORD dst_unused:UNUSED_PAD src0_sel:WORD_1 src1_sel:DWORD
	v_fma_f16 v6, v90, v3, v6
	v_mul_f16_sdwa v3, v90, v3 dst_sel:DWORD dst_unused:UNUSED_PAD src0_sel:WORD_1 src1_sel:DWORD
	v_fma_f16 v7, v90, v2, -v3
	s_waitcnt lgkmcnt(0)
	v_lshrrev_b32_e32 v2, 16, v4
	v_mul_f16_sdwa v3, v91, v4 dst_sel:DWORD dst_unused:UNUSED_PAD src0_sel:WORD_1 src1_sel:DWORD
	v_fma_f16 v12, v91, v2, -v3
	v_mul_f16_sdwa v2, v91, v2 dst_sel:DWORD dst_unused:UNUSED_PAD src0_sel:WORD_1 src1_sel:DWORD
	v_fma_f16 v86, v91, v4, v2
	ds_read2_b32 v[2:3], v160 offset0:100 offset1:149
	v_lshrrev_b32_e32 v4, 16, v5
	;; [unrolled: 12-line block ×6, first 2 shown]
	v_mul_f16_sdwa v32, v115, v4 dst_sel:DWORD dst_unused:UNUSED_PAD src0_sel:WORD_1 src1_sel:DWORD
	v_fma_f16 v44, v115, v5, v32
	v_mul_f16_sdwa v5, v115, v5 dst_sel:DWORD dst_unused:UNUSED_PAD src0_sel:WORD_1 src1_sel:DWORD
	v_fma_f16 v45, v115, v4, -v5
	s_waitcnt lgkmcnt(0)
	v_lshrrev_b32_e32 v4, 16, v2
	v_mul_f16_sdwa v5, v114, v2 dst_sel:DWORD dst_unused:UNUSED_PAD src0_sel:WORD_1 src1_sel:DWORD
	v_fma_f16 v46, v114, v4, -v5
	v_mul_f16_sdwa v4, v114, v4 dst_sel:DWORD dst_unused:UNUSED_PAD src0_sel:WORD_1 src1_sel:DWORD
	v_fma_f16 v47, v114, v2, v4
	ds_read_b32 v4, v96 offset:9408
	v_lshrrev_b32_e32 v2, 16, v3
	v_mul_f16_sdwa v5, v112, v2 dst_sel:DWORD dst_unused:UNUSED_PAD src0_sel:WORD_1 src1_sel:DWORD
	v_fma_f16 v32, v112, v3, v5
	v_mul_f16_sdwa v3, v112, v3 dst_sel:DWORD dst_unused:UNUSED_PAD src0_sel:WORD_1 src1_sel:DWORD
	v_fma_f16 v33, v112, v2, -v3
	s_waitcnt lgkmcnt(0)
	v_lshrrev_b32_e32 v2, 16, v4
	v_mul_f16_sdwa v3, v113, v2 dst_sel:DWORD dst_unused:UNUSED_PAD src0_sel:WORD_1 src1_sel:DWORD
	v_fma_f16 v34, v113, v4, v3
	v_mul_f16_sdwa v3, v113, v4 dst_sel:DWORD dst_unused:UNUSED_PAD src0_sel:WORD_1 src1_sel:DWORD
	v_fma_f16 v35, v113, v2, -v3
	ds_read2_b32 v[2:3], v96 offset1:49
	v_add_f16_e32 v112, v82, v86
	v_add_f16_e32 v115, v81, v12
	;; [unrolled: 1-line block ×4, first 2 shown]
	v_sub_f16_e32 v114, v81, v12
	v_sub_f16_e32 v117, v137, v6
	;; [unrolled: 1-line block ×3, first 2 shown]
	v_add_f16_e32 v4, v84, v80
	v_add_f16_e32 v6, v83, v13
	v_sub_f16_e32 v7, v13, v83
	v_add_f16_e32 v12, v116, v112
	v_add_f16_e32 v13, v119, v115
	;; [unrolled: 1-line block ×4, first 2 shown]
	v_sub_f16_e32 v5, v80, v84
	s_waitcnt lgkmcnt(0)
	v_add_f16_e32 v80, v12, v2
	v_add_f16_sdwa v2, v13, v2 dst_sel:DWORD dst_unused:UNUSED_PAD src0_sel:DWORD src1_sel:WORD_1
	v_lshlrev_b32_e32 v81, 16, v2
	v_fma_f16 v120, v12, s6, v80
	v_sub_f16_e32 v12, v112, v4
	v_or_b32_e32 v81, v81, v80
	v_sub_f16_e32 v80, v4, v116
	v_sub_f16_e32 v4, v115, v6
	v_mul_f16_e32 v94, 0x3a52, v12
	v_sub_f16_e32 v113, v82, v86
	v_fma_f16 v2, v13, s6, v2
	v_sub_f16_e32 v137, v6, v119
	v_sub_f16_e32 v13, v5, v117
	v_sub_f16_e32 v82, v7, v118
	v_mul_f16_e32 v92, 0x3a52, v4
	v_fma_f16 v4, v80, s8, v94
	v_add_f16_e32 v6, v5, v117
	v_sub_f16_e32 v84, v113, v5
	v_mul_f16_e32 v93, 0x3846, v13
	v_mul_f16_e32 v87, 0x3846, v82
	v_add_f16_e32 v82, v4, v120
	v_fma_f16 v4, v137, s8, v92
	v_add_f16_e32 v5, v7, v118
	v_sub_f16_e32 v86, v114, v7
	v_add_f16_e32 v136, v6, v113
	v_add_f16_e32 v83, v4, v2
	v_fma_f16 v4, v84, s2, v93
	v_add_f16_e32 v121, v5, v114
	v_fma_f16 v138, v136, s10, v4
	v_fma_f16 v4, v86, s2, v87
	;; [unrolled: 1-line block ×3, first 2 shown]
	v_add_f16_e32 v4, v139, v82
	v_sub_f16_e32 v5, v83, v138
	v_pack_b32_f16 v6, v4, v5
	ds_read2_b32 v[4:5], v96 offset0:98 offset1:147
	ds_read2_b32 v[12:13], v96 offset0:196 offset1:245
	s_waitcnt lgkmcnt(0)
	; wave barrier
	s_waitcnt lgkmcnt(0)
	ds_write2_b32 v96, v81, v6 offset1:49
	v_sub_f16_e32 v7, v119, v115
	v_sub_f16_e32 v81, v117, v113
	v_mul_f16_e32 v91, 0x2b26, v137
	v_sub_f16_e32 v90, v118, v114
	v_fma_f16 v91, v7, s9, -v91
	v_fma_f16 v7, v7, s3, -v92
	v_fma_f16 v92, v81, s11, -v93
	v_mul_f16_e32 v81, 0x3b00, v81
	v_sub_f16_e32 v6, v116, v112
	v_mul_f16_e32 v80, 0x2b26, v80
	v_fma_f16 v81, v84, s7, v81
	v_fma_f16 v84, v90, s11, -v87
	v_mul_f16_e32 v87, 0x3b00, v90
	v_fma_f16 v80, v6, s9, -v80
	v_fma_f16 v6, v6, s3, -v94
	v_fma_f16 v86, v86, s7, v87
	v_add_f16_e32 v6, v6, v120
	v_add_f16_e32 v87, v91, v2
	;; [unrolled: 1-line block ×3, first 2 shown]
	v_fma_f16 v81, v136, s10, v81
	v_fma_f16 v86, v121, s10, v86
	v_add_f16_e32 v80, v80, v120
	v_fma_f16 v7, v136, s10, v92
	v_fma_f16 v84, v121, s10, v84
	v_add_f16_e32 v90, v86, v6
	v_sub_f16_e32 v91, v2, v81
	v_pack_b32_f16 v90, v90, v91
	v_sub_f16_e32 v91, v80, v84
	v_add_f16_e32 v92, v7, v87
	v_add_f16_e32 v80, v84, v80
	v_sub_f16_e32 v7, v87, v7
	v_sub_f16_e32 v6, v6, v86
	v_add_f16_e32 v2, v81, v2
	v_pack_b32_f16 v7, v80, v7
	v_pack_b32_f16 v2, v6, v2
	ds_write2_b32 v96, v7, v2 offset0:196 offset1:245
	v_add_f16_e32 v6, v138, v83
	v_add_f16_e32 v7, v102, v132
	;; [unrolled: 1-line block ×5, first 2 shown]
	v_sub_f16_e32 v2, v82, v139
	v_add_f16_e32 v81, v104, v85
	v_add_f16_e32 v82, v80, v7
	;; [unrolled: 1-line block ×4, first 2 shown]
	v_pack_b32_f16 v91, v91, v92
	v_add_f16_e32 v82, v81, v82
	v_add_f16_e32 v87, v86, v87
	ds_write2_b32 v96, v90, v91 offset0:98 offset1:147
	v_add_f16_e32 v90, v82, v3
	v_add_f16_sdwa v3, v87, v3 dst_sel:DWORD dst_unused:UNUSED_PAD src0_sel:DWORD src1_sel:WORD_1
	v_pack_b32_f16 v2, v2, v6
	v_lshlrev_b32_e32 v6, 16, v3
	v_or_b32_e32 v6, v6, v90
	v_sub_f16_e32 v39, v39, v135
	v_sub_f16_e32 v85, v85, v104
	ds_write2_b32 v159, v2, v6 offset0:38 offset1:87
	v_sub_f16_e32 v2, v102, v132
	v_sub_f16_e32 v6, v101, v133
	;; [unrolled: 1-line block ×10, first 2 shown]
	v_add_f16_e32 v86, v85, v39
	v_sub_f16_e32 v92, v85, v39
	v_sub_f16_e32 v85, v2, v85
	;; [unrolled: 1-line block ×3, first 2 shown]
	v_add_f16_e32 v2, v86, v2
	v_add_f16_e32 v86, v88, v40
	v_sub_f16_e32 v93, v88, v40
	v_sub_f16_e32 v40, v40, v6
	v_mul_f16_e32 v7, 0x3a52, v7
	v_mul_f16_e32 v83, 0x3a52, v83
	v_sub_f16_e32 v88, v6, v88
	v_add_f16_e32 v6, v86, v6
	v_fma_f16 v82, v82, s6, v90
	v_fma_f16 v3, v87, s6, v3
	v_mul_f16_e32 v86, 0x3846, v92
	v_mul_f16_e32 v87, 0x3846, v93
	;; [unrolled: 1-line block ×4, first 2 shown]
	v_fma_f16 v93, v80, s8, v7
	v_fma_f16 v94, v84, s8, v83
	v_mul_f16_e32 v80, 0x2b26, v80
	v_mul_f16_e32 v84, 0x2b26, v84
	v_fma_f16 v90, v85, s7, v90
	v_fma_f16 v85, v85, s2, v86
	;; [unrolled: 1-line block ×4, first 2 shown]
	v_fma_f16 v83, v81, s3, -v83
	v_fma_f16 v80, v91, s9, -v80
	;; [unrolled: 1-line block ×5, first 2 shown]
	v_add_f16_e32 v94, v94, v3
	v_fma_f16 v85, v2, s10, v85
	v_fma_f16 v88, v6, s10, v88
	v_add_f16_e32 v83, v83, v3
	v_fma_f16 v90, v2, s10, v90
	v_fma_f16 v92, v6, s10, v92
	v_add_f16_e32 v80, v80, v82
	v_add_f16_e32 v3, v81, v3
	v_fma_f16 v2, v2, s10, v39
	v_fma_f16 v6, v6, s10, v40
	v_add_f16_e32 v93, v93, v82
	v_fma_f16 v7, v91, s3, -v7
	v_sub_f16_e32 v39, v80, v6
	v_add_f16_e32 v6, v6, v80
	v_add_f16_e32 v40, v2, v3
	v_sub_f16_e32 v2, v3, v2
	v_add_f16_e32 v101, v88, v93
	v_sub_f16_e32 v102, v94, v85
	v_add_f16_e32 v7, v7, v82
	v_pack_b32_f16 v3, v39, v40
	v_pack_b32_f16 v2, v6, v2
	;; [unrolled: 1-line block ×3, first 2 shown]
	v_add_f16_e32 v102, v92, v7
	ds_write2_b32 v173, v3, v2 offset0:106 offset1:155
	v_sub_f16_e32 v2, v7, v92
	v_add_f16_e32 v3, v90, v83
	v_sub_f16_e32 v6, v93, v88
	v_add_f16_e32 v7, v85, v94
	v_pack_b32_f16 v2, v2, v3
	v_pack_b32_f16 v3, v6, v7
	ds_write2_b32 v207, v2, v3 offset0:76 offset1:125
	v_add_f16_e32 v2, v89, v111
	v_add_f16_e32 v6, v56, v110
	v_sub_f16_e32 v7, v56, v110
	v_add_f16_e32 v39, v98, v108
	v_add_f16_e32 v56, v140, v109
	v_sub_f16_e32 v103, v83, v90
	v_add_f16_e32 v81, v95, v100
	v_add_f16_e32 v83, v58, v99
	;; [unrolled: 1-line block ×6, first 2 shown]
	v_sub_f16_e32 v40, v98, v108
	v_sub_f16_e32 v80, v140, v109
	;; [unrolled: 1-line block ×4, first 2 shown]
	v_add_f16_e32 v86, v84, v4
	v_add_f16_sdwa v4, v85, v4 dst_sel:DWORD dst_unused:UNUSED_PAD src0_sel:DWORD src1_sel:WORD_1
	v_sub_f16_e32 v3, v89, v111
	v_lshlrev_b32_e32 v87, 16, v4
	v_add_f16_e32 v88, v82, v40
	v_sub_f16_e32 v89, v82, v40
	v_add_f16_e32 v90, v58, v80
	v_sub_f16_e32 v91, v58, v80
	v_or_b32_e32 v87, v87, v86
	v_fma_f16 v84, v84, s6, v86
	v_fma_f16 v4, v85, s6, v4
	v_sub_f16_e32 v85, v2, v81
	v_sub_f16_e32 v81, v81, v39
	;; [unrolled: 1-line block ×6, first 2 shown]
	v_add_f16_e32 v88, v88, v3
	v_add_f16_e32 v90, v90, v7
	v_mul_f16_e32 v89, 0x3846, v89
	v_mul_f16_e32 v91, 0x3846, v91
	v_sub_f16_e32 v3, v40, v3
	v_sub_f16_e32 v7, v80, v7
	v_mul_f16_e32 v85, 0x3a52, v85
	v_mul_f16_e32 v86, 0x3a52, v86
	v_sub_f16_e32 v2, v39, v2
	v_sub_f16_e32 v6, v56, v6
	v_mul_f16_e32 v39, 0x2b26, v81
	v_mul_f16_e32 v40, 0x2b26, v83
	v_fma_f16 v56, v3, s11, -v89
	v_mul_f16_e32 v3, 0x3b00, v3
	v_fma_f16 v80, v7, s11, -v91
	v_mul_f16_e32 v7, 0x3b00, v7
	v_fma_f16 v93, v83, s8, v86
	v_fma_f16 v39, v2, s9, -v39
	v_fma_f16 v2, v2, s3, -v85
	;; [unrolled: 1-line block ×4, first 2 shown]
	v_fma_f16 v3, v82, s7, v3
	v_fma_f16 v7, v58, s7, v7
	v_add_f16_e32 v93, v93, v4
	v_add_f16_e32 v2, v2, v84
	;; [unrolled: 1-line block ×4, first 2 shown]
	v_fma_f16 v3, v88, s10, v3
	v_fma_f16 v7, v90, s10, v7
	;; [unrolled: 1-line block ×3, first 2 shown]
	v_add_f16_e32 v39, v39, v84
	v_fma_f16 v6, v88, s10, v56
	v_fma_f16 v56, v90, s10, v80
	v_add_f16_e32 v58, v7, v2
	v_sub_f16_e32 v80, v4, v3
	v_fma_f16 v92, v81, s8, v85
	v_pack_b32_f16 v58, v58, v80
	v_sub_f16_e32 v80, v39, v56
	v_add_f16_e32 v81, v6, v40
	v_add_f16_e32 v39, v56, v39
	v_sub_f16_e32 v6, v40, v6
	v_sub_f16_e32 v2, v2, v7
	v_add_f16_e32 v3, v3, v4
	v_pack_b32_f16 v102, v102, v103
	v_pack_b32_f16 v80, v80, v81
	v_accvgpr_read_b32 v81, a37
	v_pack_b32_f16 v4, v39, v6
	v_pack_b32_f16 v2, v2, v3
	ds_write2_b32 v159, v101, v102 offset0:136 offset1:185
	ds_write2_b32 v81, v4, v2 offset0:114 offset1:163
	v_add_f16_e32 v2, v59, v141
	v_add_f16_e32 v4, v57, v105
	;; [unrolled: 1-line block ×5, first 2 shown]
	v_sub_f16_e32 v53, v53, v54
	v_add_f16_e32 v54, v52, v55
	v_sub_f16_e32 v52, v55, v52
	v_add_f16_e32 v55, v7, v2
	v_add_f16_e32 v56, v39, v4
	v_add_f16_e32 v55, v40, v55
	v_add_f16_e32 v56, v54, v56
	v_sub_f16_e32 v6, v57, v105
	v_sub_f16_e32 v37, v37, v107
	;; [unrolled: 1-line block ×3, first 2 shown]
	v_add_f16_e32 v57, v55, v5
	v_add_f16_sdwa v5, v56, v5 dst_sel:DWORD dst_unused:UNUSED_PAD src0_sel:DWORD src1_sel:WORD_1
	v_fma_f16 v94, v82, s2, v89
	ds_write2_b32 v81, v58, v80 offset0:16 offset1:65
	v_sub_f16_e32 v3, v59, v141
	v_lshlrev_b32_e32 v58, 16, v5
	v_add_f16_e32 v59, v53, v37
	v_sub_f16_e32 v80, v53, v37
	v_add_f16_e32 v81, v52, v38
	v_sub_f16_e32 v82, v52, v38
	v_or_b32_e32 v58, v58, v57
	v_fma_f16 v55, v55, s6, v57
	v_fma_f16 v5, v56, s6, v5
	v_sub_f16_e32 v56, v2, v40
	v_sub_f16_e32 v40, v40, v7
	;; [unrolled: 1-line block ×6, first 2 shown]
	v_add_f16_e32 v59, v59, v3
	v_add_f16_e32 v81, v81, v6
	v_mul_f16_e32 v80, 0x3846, v80
	v_mul_f16_e32 v82, 0x3846, v82
	v_sub_f16_e32 v3, v37, v3
	v_sub_f16_e32 v6, v38, v6
	v_mul_f16_e32 v56, 0x3a52, v56
	v_mul_f16_e32 v57, 0x3a52, v57
	v_sub_f16_e32 v2, v7, v2
	v_sub_f16_e32 v4, v39, v4
	v_mul_f16_e32 v7, 0x2b26, v40
	v_mul_f16_e32 v37, 0x2b26, v54
	v_fma_f16 v38, v3, s11, -v80
	v_mul_f16_e32 v3, 0x3b00, v3
	v_fma_f16 v39, v6, s11, -v82
	v_mul_f16_e32 v6, 0x3b00, v6
	v_fma_f16 v7, v2, s9, -v7
	v_fma_f16 v2, v2, s3, -v56
	v_fma_f16 v37, v4, s9, -v37
	;; [unrolled: 1-line block ×3, first 2 shown]
	v_fma_f16 v3, v53, s7, v3
	v_fma_f16 v6, v52, s7, v6
	v_add_f16_e32 v92, v92, v84
	v_fma_f16 v84, v54, s8, v57
	v_add_f16_e32 v2, v2, v55
	v_add_f16_e32 v4, v4, v5
	v_fma_f16 v3, v59, s10, v3
	v_fma_f16 v6, v81, s10, v6
	v_fma_f16 v83, v40, s8, v56
	v_add_f16_e32 v84, v84, v5
	v_add_f16_e32 v7, v7, v55
	;; [unrolled: 1-line block ×3, first 2 shown]
	v_fma_f16 v5, v59, s10, v38
	v_fma_f16 v38, v81, s10, v39
	v_add_f16_e32 v39, v6, v2
	v_sub_f16_e32 v40, v4, v3
	v_fma_f16 v86, v52, s2, v82
	v_pack_b32_f16 v39, v39, v40
	v_sub_f16_e32 v40, v7, v38
	v_add_f16_e32 v52, v5, v37
	v_add_f16_e32 v7, v38, v7
	v_sub_f16_e32 v5, v37, v5
	v_sub_f16_e32 v2, v2, v6
	v_add_f16_e32 v3, v3, v4
	v_pack_b32_f16 v40, v40, v52
	v_accvgpr_read_b32 v52, a39
	v_pack_b32_f16 v4, v7, v5
	v_pack_b32_f16 v2, v2, v3
	ds_write2_b32 v52, v4, v2 offset0:201 offset1:250
	v_add_f16_e32 v2, v25, v97
	v_sub_f16_e32 v3, v25, v97
	v_add_f16_e32 v4, v26, v51
	v_add_f16_e32 v6, v42, v49
	;; [unrolled: 1-line block ×3, first 2 shown]
	ds_write2_b32 v52, v39, v40 offset0:103 offset1:152
	v_add_f16_e32 v37, v29, v48
	v_add_f16_e32 v38, v30, v43
	;; [unrolled: 1-line block ×6, first 2 shown]
	v_sub_f16_e32 v5, v26, v51
	v_sub_f16_e32 v7, v42, v49
	;; [unrolled: 1-line block ×5, first 2 shown]
	v_add_f16_e32 v41, v39, v12
	v_add_f16_sdwa v12, v40, v12 dst_sel:DWORD dst_unused:UNUSED_PAD src0_sel:DWORD src1_sel:WORD_1
	v_lshlrev_b32_e32 v42, 16, v12
	v_add_f16_e32 v43, v29, v7
	v_sub_f16_e32 v48, v29, v7
	v_add_f16_e32 v49, v30, v26
	v_sub_f16_e32 v50, v30, v26
	v_or_b32_e32 v42, v42, v41
	v_fma_f16 v39, v39, s6, v41
	v_fma_f16 v12, v40, s6, v12
	v_sub_f16_e32 v40, v2, v37
	v_sub_f16_e32 v37, v37, v6
	;; [unrolled: 1-line block ×6, first 2 shown]
	v_add_f16_e32 v43, v43, v3
	v_add_f16_e32 v49, v49, v5
	v_mul_f16_e32 v48, 0x3846, v48
	v_mul_f16_e32 v50, 0x3846, v50
	v_sub_f16_e32 v3, v7, v3
	v_sub_f16_e32 v5, v26, v5
	v_mul_f16_e32 v40, 0x3a52, v40
	v_mul_f16_e32 v41, 0x3a52, v41
	v_sub_f16_e32 v2, v6, v2
	v_sub_f16_e32 v4, v25, v4
	v_mul_f16_e32 v6, 0x2b26, v37
	v_mul_f16_e32 v7, 0x2b26, v38
	v_fma_f16 v25, v3, s11, -v48
	v_mul_f16_e32 v3, 0x3b00, v3
	v_fma_f16 v26, v5, s11, -v50
	;; [unrolled: 2-line block ×3, first 2 shown]
	v_fma_f16 v2, v2, s3, -v40
	v_fma_f16 v7, v4, s9, -v7
	;; [unrolled: 1-line block ×3, first 2 shown]
	v_fma_f16 v3, v29, s7, v3
	v_fma_f16 v5, v30, s7, v5
	;; [unrolled: 1-line block ×3, first 2 shown]
	v_add_f16_e32 v2, v2, v39
	v_add_f16_e32 v4, v4, v12
	v_fma_f16 v3, v43, s10, v3
	v_fma_f16 v5, v49, s10, v5
	;; [unrolled: 1-line block ×4, first 2 shown]
	v_add_f16_e32 v52, v52, v12
	v_fma_f16 v53, v29, s2, v48
	v_fma_f16 v54, v30, s2, v50
	v_add_f16_e32 v6, v6, v39
	v_add_f16_e32 v7, v7, v12
	v_fma_f16 v12, v43, s10, v25
	v_fma_f16 v25, v49, s10, v26
	v_add_f16_e32 v26, v5, v2
	v_sub_f16_e32 v29, v4, v3
	v_add_f16_e32 v51, v51, v39
	v_fma_f16 v53, v43, s10, v53
	v_fma_f16 v54, v49, s10, v54
	v_pack_b32_f16 v26, v26, v29
	v_sub_f16_e32 v29, v6, v25
	v_add_f16_e32 v30, v12, v7
	v_add_f16_e32 v6, v25, v6
	v_sub_f16_e32 v7, v7, v12
	v_sub_f16_e32 v2, v2, v5
	v_add_f16_e32 v3, v3, v4
	v_add_f16_e32 v83, v83, v55
	;; [unrolled: 1-line block ×3, first 2 shown]
	v_sub_f16_e32 v56, v52, v53
	v_pack_b32_f16 v4, v6, v7
	v_pack_b32_f16 v2, v2, v3
	v_accvgpr_read_b32 v3, a43
	v_pack_b32_f16 v55, v55, v56
	v_accvgpr_read_b32 v56, a42
	v_pack_b32_f16 v29, v29, v30
	ds_write2_b32 v3, v4, v2 offset0:32 offset1:81
	v_add_f16_e32 v2, v31, v44
	v_add_f16_e32 v4, v27, v45
	;; [unrolled: 1-line block ×4, first 2 shown]
	ds_write2_b32 v56, v26, v29 offset0:190 offset1:239
	v_sub_f16_e32 v5, v27, v45
	v_sub_f16_e32 v7, v21, v47
	;; [unrolled: 1-line block ×3, first 2 shown]
	v_add_f16_e32 v22, v36, v23
	v_add_f16_e32 v25, v28, v24
	;; [unrolled: 1-line block ×6, first 2 shown]
	v_sub_f16_e32 v23, v23, v36
	v_sub_f16_e32 v24, v24, v28
	v_add_f16_e32 v28, v26, v13
	v_add_f16_sdwa v13, v27, v13 dst_sel:DWORD dst_unused:UNUSED_PAD src0_sel:DWORD src1_sel:WORD_1
	v_sub_f16_e32 v3, v31, v44
	v_lshlrev_b32_e32 v29, 16, v13
	v_add_f16_e32 v30, v23, v7
	v_sub_f16_e32 v31, v23, v7
	v_add_f16_e32 v36, v24, v21
	v_sub_f16_e32 v37, v24, v21
	v_or_b32_e32 v29, v29, v28
	v_fma_f16 v26, v26, s6, v28
	v_fma_f16 v13, v27, s6, v13
	v_sub_f16_e32 v27, v2, v22
	v_sub_f16_e32 v22, v22, v6
	v_sub_f16_e32 v28, v4, v25
	v_sub_f16_e32 v25, v25, v12
	v_sub_f16_e32 v23, v3, v23
	v_sub_f16_e32 v24, v5, v24
	v_add_f16_e32 v30, v30, v3
	v_add_f16_e32 v36, v36, v5
	v_mul_f16_e32 v31, 0x3846, v31
	v_mul_f16_e32 v37, 0x3846, v37
	v_sub_f16_e32 v3, v7, v3
	v_sub_f16_e32 v5, v21, v5
	v_mul_f16_e32 v27, 0x3a52, v27
	v_mul_f16_e32 v28, 0x3a52, v28
	v_sub_f16_e32 v2, v6, v2
	v_sub_f16_e32 v4, v12, v4
	v_mul_f16_e32 v6, 0x2b26, v22
	v_mul_f16_e32 v7, 0x2b26, v25
	v_fma_f16 v12, v3, s11, -v31
	v_mul_f16_e32 v3, 0x3b00, v3
	v_fma_f16 v21, v5, s11, -v37
	;; [unrolled: 2-line block ×3, first 2 shown]
	v_fma_f16 v2, v2, s3, -v27
	v_fma_f16 v7, v4, s9, -v7
	;; [unrolled: 1-line block ×3, first 2 shown]
	v_fma_f16 v3, v23, s7, v3
	v_fma_f16 v5, v24, s7, v5
	;; [unrolled: 1-line block ×3, first 2 shown]
	v_add_f16_e32 v2, v2, v26
	v_add_f16_e32 v4, v4, v13
	v_fma_f16 v3, v30, s10, v3
	v_fma_f16 v5, v36, s10, v5
	;; [unrolled: 1-line block ×3, first 2 shown]
	v_add_f16_e32 v39, v39, v13
	v_add_f16_e32 v6, v6, v26
	;; [unrolled: 1-line block ×3, first 2 shown]
	v_fma_f16 v12, v30, s10, v12
	v_fma_f16 v13, v36, s10, v21
	v_add_f16_e32 v21, v5, v2
	v_sub_f16_e32 v22, v4, v3
	v_fma_f16 v40, v23, s2, v31
	v_pack_b32_f16 v21, v21, v22
	v_sub_f16_e32 v22, v6, v13
	v_add_f16_e32 v23, v12, v7
	v_add_f16_e32 v6, v13, v6
	v_sub_f16_e32 v7, v7, v12
	v_sub_f16_e32 v2, v2, v5
	v_add_f16_e32 v3, v3, v4
	v_pack_b32_f16 v22, v22, v23
	v_accvgpr_read_b32 v23, a45
	v_pack_b32_f16 v4, v6, v7
	v_pack_b32_f16 v2, v2, v3
	ds_write2_b32 v23, v4, v2 offset0:119 offset1:168
	v_add_f16_e32 v2, v1, v34
	v_add_f16_e32 v3, v14, v35
	;; [unrolled: 1-line block ×4, first 2 shown]
	v_sub_f16_e32 v4, v14, v35
	v_sub_f16_e32 v6, v15, v32
	;; [unrolled: 1-line block ×3, first 2 shown]
	v_add_f16_e32 v13, v17, v20
	v_sub_f16_e32 v14, v20, v17
	v_add_f16_e32 v15, v18, v19
	v_sub_f16_e32 v16, v19, v18
	v_add_f16_e32 v17, v5, v2
	v_add_f16_e32 v18, v7, v3
	v_add_f16_e32 v17, v13, v17
	v_add_f16_e32 v18, v15, v18
	v_add_f16_e32 v19, v17, v0
	v_add_f16_sdwa v0, v18, v0 dst_sel:DWORD dst_unused:UNUSED_PAD src0_sel:DWORD src1_sel:WORD_1
	v_fma_f16 v41, v24, s2, v37
	ds_write2_b32 v23, v21, v22 offset0:21 offset1:70
	v_sub_f16_e32 v1, v1, v34
	v_lshlrev_b32_e32 v20, 16, v0
	v_add_f16_e32 v21, v14, v6
	v_sub_f16_e32 v22, v14, v6
	v_add_f16_e32 v23, v16, v12
	v_sub_f16_e32 v24, v16, v12
	v_or_b32_e32 v20, v20, v19
	v_fma_f16 v17, v17, s6, v19
	v_fma_f16 v0, v18, s6, v0
	v_sub_f16_e32 v18, v2, v13
	v_sub_f16_e32 v13, v13, v5
	;; [unrolled: 1-line block ×6, first 2 shown]
	v_add_f16_e32 v21, v21, v1
	v_add_f16_e32 v23, v23, v4
	v_mul_f16_e32 v22, 0x3846, v22
	v_mul_f16_e32 v24, 0x3846, v24
	v_sub_f16_e32 v1, v6, v1
	v_sub_f16_e32 v4, v12, v4
	v_mul_f16_e32 v18, 0x3a52, v18
	v_mul_f16_e32 v19, 0x3a52, v19
	v_sub_f16_e32 v2, v5, v2
	v_sub_f16_e32 v3, v7, v3
	v_mul_f16_e32 v5, 0x2b26, v13
	v_mul_f16_e32 v6, 0x2b26, v15
	v_fma_f16 v7, v1, s11, -v22
	v_mul_f16_e32 v1, 0x3b00, v1
	v_fma_f16 v12, v4, s11, -v24
	v_mul_f16_e32 v4, 0x3b00, v4
	v_add_f16_e32 v38, v38, v26
	v_fma_f16 v26, v15, s8, v19
	v_fma_f16 v5, v2, s9, -v5
	v_fma_f16 v2, v2, s3, -v18
	v_fma_f16 v6, v3, s9, -v6
	v_fma_f16 v3, v3, s3, -v19
	v_fma_f16 v1, v14, s7, v1
	v_fma_f16 v4, v16, s7, v4
	v_add_f16_e32 v26, v26, v0
	v_add_f16_e32 v2, v2, v17
	;; [unrolled: 1-line block ×4, first 2 shown]
	v_fma_f16 v1, v21, s10, v1
	v_fma_f16 v4, v23, s10, v4
	;; [unrolled: 1-line block ×3, first 2 shown]
	v_add_f16_e32 v5, v5, v17
	v_fma_f16 v3, v21, s10, v7
	v_fma_f16 v7, v23, s10, v12
	v_add_f16_e32 v12, v4, v2
	v_sub_f16_e32 v13, v0, v1
	v_fma_f16 v27, v14, s2, v22
	v_pack_b32_f16 v12, v12, v13
	v_sub_f16_e32 v13, v5, v7
	v_add_f16_e32 v14, v3, v6
	v_add_f16_e32 v5, v7, v5
	v_sub_f16_e32 v3, v6, v3
	v_sub_f16_e32 v2, v2, v4
	v_add_f16_e32 v0, v1, v0
	v_fma_f16 v94, v88, s10, v94
	v_fma_f16 v95, v90, s10, v95
	v_pack_b32_f16 v13, v13, v14
	v_accvgpr_read_b32 v14, a50
	v_pack_b32_f16 v1, v5, v3
	v_pack_b32_f16 v0, v2, v0
	ds_write2_b32 v14, v1, v0 offset0:206 offset1:255
	v_sub_f16_e32 v0, v92, v95
	v_add_f16_e32 v1, v94, v93
	v_fma_f16 v85, v59, s10, v85
	v_fma_f16 v86, v81, s10, v86
	v_pack_b32_f16 v0, v0, v1
	v_accvgpr_read_b32 v1, a51
	ds_write_b32 v1, v0 offset:3920
	v_sub_f16_e32 v0, v83, v86
	v_add_f16_e32 v1, v85, v84
	v_pack_b32_f16 v0, v0, v1
	v_accvgpr_read_b32 v1, a49
	ds_write_b32 v1, v0 offset:5292
	v_sub_f16_e32 v0, v51, v54
	v_add_f16_e32 v1, v53, v52
	v_fma_f16 v40, v30, s10, v40
	v_fma_f16 v41, v36, s10, v41
	v_pack_b32_f16 v0, v0, v1
	v_accvgpr_read_b32 v1, a48
	v_add_f16_e32 v98, v95, v92
	v_sub_f16_e32 v99, v93, v94
	ds_write2_b32 v56, v42, v55 offset0:92 offset1:141
	v_add_f16_e32 v42, v41, v38
	v_sub_f16_e32 v43, v39, v40
	v_fma_f16 v28, v16, s2, v24
	ds_write_b32 v1, v0 offset:6664
	v_sub_f16_e32 v0, v38, v41
	v_add_f16_e32 v1, v40, v39
	v_pack_b32_f16 v98, v98, v99
	v_accvgpr_read_b32 v99, a35
	v_pack_b32_f16 v42, v42, v43
	v_accvgpr_read_b32 v43, a44
	v_add_f16_e32 v25, v25, v17
	v_fma_f16 v27, v21, s10, v27
	v_fma_f16 v28, v23, s10, v28
	v_pack_b32_f16 v0, v0, v1
	v_accvgpr_read_b32 v1, a47
	ds_write2_b32 v99, v87, v98 offset0:174 offset1:223
	v_add_f16_e32 v87, v86, v83
	v_sub_f16_e32 v88, v84, v85
	ds_write2_b32 v43, v29, v42 offset0:179 offset1:228
	v_add_f16_e32 v29, v28, v25
	v_sub_f16_e32 v30, v26, v27
	ds_write_b32 v1, v0 offset:8036
	v_sub_f16_e32 v0, v25, v28
	v_add_f16_e32 v1, v27, v26
	v_pack_b32_f16 v87, v87, v88
	v_accvgpr_read_b32 v88, a39
	v_pack_b32_f16 v29, v29, v30
	v_accvgpr_read_b32 v30, a50
	;; [unrolled: 2-line block ×3, first 2 shown]
	ds_write2_b32 v88, v58, v87 offset0:5 offset1:54
	ds_write2_b32 v30, v20, v29 offset0:10 offset1:59
	;; [unrolled: 1-line block ×3, first 2 shown]
	ds_write_b32 v1, v0 offset:9408
	s_waitcnt lgkmcnt(0)
	; wave barrier
	s_waitcnt lgkmcnt(0)
	ds_read2_b32 v[0:1], v159 offset0:38 offset1:87
	ds_read2_b32 v[4:5], v207 offset0:174 offset1:223
	v_accvgpr_read_b32 v134, a62
	v_accvgpr_read_b32 v135, a61
	ds_read_b32 v28, v96 offset:9408
	s_waitcnt lgkmcnt(2)
	v_lshrrev_b32_e32 v2, 16, v1
	v_mul_f16_sdwa v3, v8, v1 dst_sel:DWORD dst_unused:UNUSED_PAD src0_sel:WORD_1 src1_sel:DWORD
	v_fma_f16 v81, v8, v2, -v3
	v_mul_f16_sdwa v2, v8, v2 dst_sel:DWORD dst_unused:UNUSED_PAD src0_sel:WORD_1 src1_sel:DWORD
	v_fma_f16 v82, v8, v1, v2
	ds_read2_b32 v[2:3], v158 offset0:84 offset1:133
	s_waitcnt lgkmcnt(2)
	v_lshrrev_b32_e32 v1, 16, v4
	v_mul_f16_sdwa v6, v9, v4 dst_sel:DWORD dst_unused:UNUSED_PAD src0_sel:WORD_1 src1_sel:DWORD
	v_fma_f16 v80, v9, v1, -v6
	ds_read2_b32 v[6:7], v163 offset0:92 offset1:141
	v_mul_f16_sdwa v1, v9, v1 dst_sel:DWORD dst_unused:UNUSED_PAD src0_sel:WORD_1 src1_sel:DWORD
	v_fma_f16 v83, v9, v4, v1
	s_waitcnt lgkmcnt(1)
	v_lshrrev_b32_e32 v1, 16, v3
	v_mul_f16_sdwa v4, v10, v3 dst_sel:DWORD dst_unused:UNUSED_PAD src0_sel:WORD_1 src1_sel:DWORD
	v_fma_f16 v84, v10, v1, -v4
	v_mul_f16_sdwa v1, v10, v1 dst_sel:DWORD dst_unused:UNUSED_PAD src0_sel:WORD_1 src1_sel:DWORD
	v_fma_f16 v3, v10, v3, v1
	s_waitcnt lgkmcnt(0)
	v_lshrrev_b32_e32 v1, 16, v6
	v_mul_f16_sdwa v4, v11, v6 dst_sel:DWORD dst_unused:UNUSED_PAD src0_sel:WORD_1 src1_sel:DWORD
	v_fma_f16 v85, v11, v1, -v4
	v_mul_f16_sdwa v1, v11, v1 dst_sel:DWORD dst_unused:UNUSED_PAD src0_sel:WORD_1 src1_sel:DWORD
	v_fma_f16 v86, v11, v6, v1
	v_lshrrev_b32_e32 v1, 16, v5
	v_mul_f16_sdwa v4, v215, v1 dst_sel:DWORD dst_unused:UNUSED_PAD src0_sel:WORD_1 src1_sel:DWORD
	v_fma_f16 v19, v215, v5, v4
	v_mul_f16_sdwa v4, v215, v5 dst_sel:DWORD dst_unused:UNUSED_PAD src0_sel:WORD_1 src1_sel:DWORD
	v_fma_f16 v20, v215, v1, -v4
	v_lshrrev_b32_e32 v1, 16, v7
	ds_read2_b32 v[4:5], v159 offset0:136 offset1:185
	v_mul_f16_sdwa v6, v217, v1 dst_sel:DWORD dst_unused:UNUSED_PAD src0_sel:WORD_1 src1_sel:DWORD
	v_fma_f16 v21, v217, v7, v6
	v_mul_f16_sdwa v6, v217, v7 dst_sel:DWORD dst_unused:UNUSED_PAD src0_sel:WORD_1 src1_sel:DWORD
	v_fma_f16 v22, v217, v1, -v6
	ds_read2_b32 v[6:7], v175 offset0:54 offset1:103
	s_waitcnt lgkmcnt(1)
	v_lshrrev_b32_e32 v1, 16, v4
	v_mul_f16_sdwa v8, v214, v4 dst_sel:DWORD dst_unused:UNUSED_PAD src0_sel:WORD_1 src1_sel:DWORD
	v_fma_f16 v29, v214, v1, -v8
	v_mul_f16_sdwa v1, v214, v1 dst_sel:DWORD dst_unused:UNUSED_PAD src0_sel:WORD_1 src1_sel:DWORD
	v_fma_f16 v30, v214, v4, v1
	s_waitcnt lgkmcnt(0)
	v_lshrrev_b32_e32 v1, 16, v6
	v_mul_f16_sdwa v4, v216, v6 dst_sel:DWORD dst_unused:UNUSED_PAD src0_sel:WORD_1 src1_sel:DWORD
	v_fma_f16 v31, v216, v1, -v4
	v_mul_f16_sdwa v1, v216, v1 dst_sel:DWORD dst_unused:UNUSED_PAD src0_sel:WORD_1 src1_sel:DWORD
	v_fma_f16 v34, v216, v6, v1
	v_lshrrev_b32_e32 v1, 16, v5
	v_mul_f16_sdwa v4, v60, v1 dst_sel:DWORD dst_unused:UNUSED_PAD src0_sel:WORD_1 src1_sel:DWORD
	v_fma_f16 v35, v60, v5, v4
	v_mul_f16_sdwa v4, v60, v5 dst_sel:DWORD dst_unused:UNUSED_PAD src0_sel:WORD_1 src1_sel:DWORD
	v_fma_f16 v36, v60, v1, -v4
	v_lshrrev_b32_e32 v1, 16, v7
	ds_read2_b32 v[4:5], v161 offset0:16 offset1:65
	v_mul_f16_sdwa v6, v62, v1 dst_sel:DWORD dst_unused:UNUSED_PAD src0_sel:WORD_1 src1_sel:DWORD
	v_fma_f16 v37, v62, v7, v6
	v_mul_f16_sdwa v6, v62, v7 dst_sel:DWORD dst_unused:UNUSED_PAD src0_sel:WORD_1 src1_sel:DWORD
	v_fma_f16 v38, v62, v1, -v6
	ds_read2_b32 v[6:7], v163 offset0:190 offset1:239
	;; [unrolled: 24-line block ×3, first 2 shown]
	s_waitcnt lgkmcnt(1)
	v_lshrrev_b32_e32 v1, 16, v4
	v_mul_f16_sdwa v8, v64, v4 dst_sel:DWORD dst_unused:UNUSED_PAD src0_sel:WORD_1 src1_sel:DWORD
	v_fma_f16 v39, v64, v1, -v8
	v_mul_f16_sdwa v1, v64, v1 dst_sel:DWORD dst_unused:UNUSED_PAD src0_sel:WORD_1 src1_sel:DWORD
	v_fma_f16 v42, v64, v4, v1
	s_waitcnt lgkmcnt(0)
	v_lshrrev_b32_e32 v1, 16, v6
	v_mul_f16_sdwa v4, v66, v6 dst_sel:DWORD dst_unused:UNUSED_PAD src0_sel:WORD_1 src1_sel:DWORD
	v_fma_f16 v40, v66, v1, -v4
	v_mul_f16_sdwa v1, v66, v1 dst_sel:DWORD dst_unused:UNUSED_PAD src0_sel:WORD_1 src1_sel:DWORD
	v_fma_f16 v44, v66, v6, v1
	v_lshrrev_b32_e32 v1, 16, v5
	v_mul_f16_sdwa v4, v68, v1 dst_sel:DWORD dst_unused:UNUSED_PAD src0_sel:WORD_1 src1_sel:DWORD
	v_fma_f16 v45, v68, v5, v4
	v_mul_f16_sdwa v4, v68, v5 dst_sel:DWORD dst_unused:UNUSED_PAD src0_sel:WORD_1 src1_sel:DWORD
	v_fma_f16 v46, v68, v1, -v4
	ds_read2_b32 v[4:5], v161 offset0:114 offset1:163
	v_lshrrev_b32_e32 v1, 16, v7
	ds_read2_b32 v[8:9], v165 offset0:32 offset1:81
	v_mul_f16_sdwa v6, v70, v1 dst_sel:DWORD dst_unused:UNUSED_PAD src0_sel:WORD_1 src1_sel:DWORD
	v_fma_f16 v50, v70, v7, v6
	v_mul_f16_sdwa v6, v70, v7 dst_sel:DWORD dst_unused:UNUSED_PAD src0_sel:WORD_1 src1_sel:DWORD
	v_fma_f16 v51, v70, v1, -v6
	s_waitcnt lgkmcnt(1)
	v_lshrrev_b32_e32 v1, 16, v4
	v_mul_f16_sdwa v6, v69, v4 dst_sel:DWORD dst_unused:UNUSED_PAD src0_sel:WORD_1 src1_sel:DWORD
	v_fma_f16 v55, v69, v1, -v6
	v_mul_f16_sdwa v1, v69, v1 dst_sel:DWORD dst_unused:UNUSED_PAD src0_sel:WORD_1 src1_sel:DWORD
	v_fma_f16 v56, v69, v4, v1
	s_waitcnt lgkmcnt(0)
	v_lshrrev_b32_e32 v1, 16, v8
	v_mul_f16_sdwa v4, v71, v8 dst_sel:DWORD dst_unused:UNUSED_PAD src0_sel:WORD_1 src1_sel:DWORD
	v_fma_f16 v57, v71, v1, -v4
	v_mul_f16_sdwa v1, v71, v1 dst_sel:DWORD dst_unused:UNUSED_PAD src0_sel:WORD_1 src1_sel:DWORD
	v_fma_f16 v58, v71, v8, v1
	v_lshrrev_b32_e32 v1, 16, v5
	v_mul_f16_sdwa v4, v73, v1 dst_sel:DWORD dst_unused:UNUSED_PAD src0_sel:WORD_1 src1_sel:DWORD
	v_fma_f16 v7, v73, v5, v4
	v_mul_f16_sdwa v4, v73, v5 dst_sel:DWORD dst_unused:UNUSED_PAD src0_sel:WORD_1 src1_sel:DWORD
	v_fma_f16 v8, v73, v1, -v4
	ds_read2_b32 v[4:5], v207 offset0:76 offset1:125
	v_lshrrev_b32_e32 v1, 16, v9
	ds_read2_b32 v[10:11], v134 offset0:122 offset1:171
	v_mul_f16_sdwa v6, v75, v1 dst_sel:DWORD dst_unused:UNUSED_PAD src0_sel:WORD_1 src1_sel:DWORD
	v_fma_f16 v13, v75, v9, v6
	v_mul_f16_sdwa v6, v75, v9 dst_sel:DWORD dst_unused:UNUSED_PAD src0_sel:WORD_1 src1_sel:DWORD
	v_fma_f16 v14, v75, v1, -v6
	s_waitcnt lgkmcnt(1)
	v_lshrrev_b32_e32 v1, 16, v4
	v_mul_f16_sdwa v6, v72, v4 dst_sel:DWORD dst_unused:UNUSED_PAD src0_sel:WORD_1 src1_sel:DWORD
	v_fma_f16 v15, v72, v1, -v6
	v_mul_f16_sdwa v1, v72, v1 dst_sel:DWORD dst_unused:UNUSED_PAD src0_sel:WORD_1 src1_sel:DWORD
	v_fma_f16 v16, v72, v4, v1
	s_waitcnt lgkmcnt(0)
	v_lshrrev_b32_e32 v1, 16, v10
	v_mul_f16_sdwa v4, v74, v10 dst_sel:DWORD dst_unused:UNUSED_PAD src0_sel:WORD_1 src1_sel:DWORD
	v_fma_f16 v17, v74, v1, -v4
	v_mul_f16_sdwa v1, v74, v1 dst_sel:DWORD dst_unused:UNUSED_PAD src0_sel:WORD_1 src1_sel:DWORD
	v_lshrrev_b32_e32 v4, 16, v5
	v_fma_f16 v18, v74, v10, v1
	v_mul_f16_sdwa v1, v76, v4 dst_sel:DWORD dst_unused:UNUSED_PAD src0_sel:WORD_1 src1_sel:DWORD
	v_fma_f16 v1, v76, v5, v1
	v_mul_f16_sdwa v5, v76, v5 dst_sel:DWORD dst_unused:UNUSED_PAD src0_sel:WORD_1 src1_sel:DWORD
	v_lshrrev_b32_e32 v6, 16, v2
	ds_read2_b32 v[60:61], v165 offset0:130 offset1:179
	v_fma_f16 v4, v76, v4, -v5
	v_mul_f16_sdwa v5, v77, v6 dst_sel:DWORD dst_unused:UNUSED_PAD src0_sel:WORD_1 src1_sel:DWORD
	v_fma_f16 v5, v77, v2, v5
	v_mul_f16_sdwa v2, v77, v2 dst_sel:DWORD dst_unused:UNUSED_PAD src0_sel:WORD_1 src1_sel:DWORD
	v_fma_f16 v6, v77, v6, -v2
	v_lshrrev_b32_e32 v2, 16, v11
	v_mul_f16_sdwa v9, v78, v2 dst_sel:DWORD dst_unused:UNUSED_PAD src0_sel:WORD_1 src1_sel:DWORD
	v_mul_f16_sdwa v10, v78, v11 dst_sel:DWORD dst_unused:UNUSED_PAD src0_sel:WORD_1 src1_sel:DWORD
	v_fma_f16 v9, v78, v11, v9
	v_fma_f16 v10, v78, v2, -v10
	s_waitcnt lgkmcnt(0)
	v_lshrrev_b32_e32 v2, 16, v60
	v_mul_f16_sdwa v11, v79, v60 dst_sel:DWORD dst_unused:UNUSED_PAD src0_sel:WORD_1 src1_sel:DWORD
	ds_read2_b32 v[62:63], v209 offset0:10 offset1:59
	v_fma_f16 v11, v79, v2, -v11
	v_mul_f16_sdwa v2, v79, v2 dst_sel:DWORD dst_unused:UNUSED_PAD src0_sel:WORD_1 src1_sel:DWORD
	v_fma_f16 v12, v79, v60, v2
	v_lshrrev_b32_e32 v2, 16, v61
	v_mul_f16_sdwa v23, v150, v2 dst_sel:DWORD dst_unused:UNUSED_PAD src0_sel:WORD_1 src1_sel:DWORD
	v_fma_f16 v75, v150, v61, v23
	v_mul_f16_sdwa v23, v150, v61 dst_sel:DWORD dst_unused:UNUSED_PAD src0_sel:WORD_1 src1_sel:DWORD
	v_fma_f16 v2, v150, v2, -v23
	s_waitcnt lgkmcnt(0)
	v_lshrrev_b32_e32 v23, 16, v62
	v_mul_f16_sdwa v24, v151, v62 dst_sel:DWORD dst_unused:UNUSED_PAD src0_sel:WORD_1 src1_sel:DWORD
	ds_read2_b32 v[60:61], v135 offset0:100 offset1:149
	v_fma_f16 v87, v151, v23, -v24
	v_mul_f16_sdwa v23, v151, v23 dst_sel:DWORD dst_unused:UNUSED_PAD src0_sel:WORD_1 src1_sel:DWORD
	v_fma_f16 v88, v151, v62, v23
	v_lshrrev_b32_e32 v23, 16, v63
	v_accvgpr_read_b32 v65, a41
	v_mul_f16_sdwa v24, v65, v23 dst_sel:DWORD dst_unused:UNUSED_PAD src0_sel:WORD_1 src1_sel:DWORD
	v_accvgpr_read_b32 v64, a40
	v_fma_f16 v67, v65, v63, v24
	v_mul_f16_sdwa v24, v65, v63 dst_sel:DWORD dst_unused:UNUSED_PAD src0_sel:WORD_1 src1_sel:DWORD
	v_fma_f16 v68, v65, v23, -v24
	s_waitcnt lgkmcnt(0)
	v_lshrrev_b32_e32 v23, 16, v60
	v_mul_f16_sdwa v24, v64, v60 dst_sel:DWORD dst_unused:UNUSED_PAD src0_sel:WORD_1 src1_sel:DWORD
	ds_read2_b32 v[62:63], v209 offset0:108 offset1:157
	v_fma_f16 v69, v64, v23, -v24
	v_mul_f16_sdwa v23, v64, v23 dst_sel:DWORD dst_unused:UNUSED_PAD src0_sel:WORD_1 src1_sel:DWORD
	v_fma_f16 v70, v64, v60, v23
	v_lshrrev_b32_e32 v23, 16, v61
	v_mul_f16_sdwa v24, v122, v23 dst_sel:DWORD dst_unused:UNUSED_PAD src0_sel:WORD_1 src1_sel:DWORD
	v_fma_f16 v71, v122, v61, v24
	v_mul_f16_sdwa v24, v122, v61 dst_sel:DWORD dst_unused:UNUSED_PAD src0_sel:WORD_1 src1_sel:DWORD
	v_fma_f16 v72, v122, v23, -v24
	s_waitcnt lgkmcnt(0)
	v_lshrrev_b32_e32 v23, 16, v62
	v_mul_f16_sdwa v24, v123, v62 dst_sel:DWORD dst_unused:UNUSED_PAD src0_sel:WORD_1 src1_sel:DWORD
	ds_read2_b32 v[64:65], v191 offset0:70 offset1:119
	v_fma_f16 v73, v123, v23, -v24
	v_mul_f16_sdwa v23, v123, v23 dst_sel:DWORD dst_unused:UNUSED_PAD src0_sel:WORD_1 src1_sel:DWORD
	v_fma_f16 v74, v123, v62, v23
	v_lshrrev_b32_e32 v23, 16, v63
	v_mul_f16_sdwa v24, v125, v23 dst_sel:DWORD dst_unused:UNUSED_PAD src0_sel:WORD_1 src1_sel:DWORD
	;; [unrolled: 12-line block ×4, first 2 shown]
	v_fma_f16 v41, v129, v77, v24
	v_mul_f16_sdwa v24, v129, v77 dst_sel:DWORD dst_unused:UNUSED_PAD src0_sel:WORD_1 src1_sel:DWORD
	v_fma_f16 v43, v129, v23, -v24
	s_waitcnt lgkmcnt(0)
	v_lshrrev_b32_e32 v23, 16, v78
	v_mul_f16_sdwa v24, v128, v78 dst_sel:DWORD dst_unused:UNUSED_PAD src0_sel:WORD_1 src1_sel:DWORD
	v_fma_f16 v47, v128, v23, -v24
	v_mul_f16_sdwa v23, v128, v23 dst_sel:DWORD dst_unused:UNUSED_PAD src0_sel:WORD_1 src1_sel:DWORD
	v_lshrrev_b32_e32 v24, 16, v79
	v_mul_f16_sdwa v27, v130, v79 dst_sel:DWORD dst_unused:UNUSED_PAD src0_sel:WORD_1 src1_sel:DWORD
	v_lshrrev_b32_e32 v76, 16, v28
	v_fma_f16 v48, v128, v78, v23
	v_mul_f16_sdwa v23, v130, v24 dst_sel:DWORD dst_unused:UNUSED_PAD src0_sel:WORD_1 src1_sel:DWORD
	v_fma_f16 v24, v130, v24, -v27
	v_mul_f16_sdwa v27, v131, v76 dst_sel:DWORD dst_unused:UNUSED_PAD src0_sel:WORD_1 src1_sel:DWORD
	v_fma_f16 v27, v131, v28, v27
	v_mul_f16_sdwa v28, v131, v28 dst_sel:DWORD dst_unused:UNUSED_PAD src0_sel:WORD_1 src1_sel:DWORD
	v_fma_f16 v23, v130, v79, v23
	v_fma_f16 v28, v131, v76, -v28
	v_add_f16_e32 v76, v82, v88
	v_add_f16_e32 v78, v81, v87
	v_sub_f16_e32 v79, v81, v87
	v_add_f16_e32 v81, v83, v75
	v_sub_f16_e32 v77, v82, v88
	v_sub_f16_e32 v75, v83, v75
	v_add_f16_e32 v82, v80, v2
	v_sub_f16_e32 v2, v80, v2
	v_add_f16_e32 v80, v3, v86
	v_add_f16_e32 v83, v84, v85
	v_sub_f16_e32 v84, v85, v84
	v_add_f16_e32 v85, v81, v76
	v_sub_f16_e32 v3, v86, v3
	v_sub_f16_e32 v86, v81, v76
	;; [unrolled: 1-line block ×4, first 2 shown]
	v_add_f16_e32 v85, v80, v85
	v_add_f16_e32 v80, v82, v78
	v_sub_f16_e32 v88, v82, v78
	v_sub_f16_e32 v78, v78, v83
	;; [unrolled: 1-line block ×3, first 2 shown]
	v_add_f16_e32 v83, v83, v80
	v_add_f16_e32 v80, v3, v75
	v_sub_f16_e32 v89, v3, v75
	v_sub_f16_e32 v3, v77, v3
	;; [unrolled: 1-line block ×3, first 2 shown]
	v_add_f16_e32 v77, v80, v77
	ds_read2_b32 v[80:81], v96 offset1:49
	v_add_f16_e32 v90, v84, v2
	v_sub_f16_e32 v91, v84, v2
	v_sub_f16_e32 v84, v79, v84
	v_sub_f16_e32 v2, v2, v79
	s_waitcnt lgkmcnt(0)
	v_add_f16_e32 v92, v85, v80
	v_add_f16_sdwa v80, v83, v80 dst_sel:DWORD dst_unused:UNUSED_PAD src0_sel:DWORD src1_sel:WORD_1
	v_add_f16_e32 v90, v90, v79
	v_lshlrev_b32_e32 v79, 16, v80
	v_fma_f16 v80, v83, s6, v80
	v_mul_f16_e32 v76, 0x3a52, v76
	v_mul_f16_e32 v83, 0x2b26, v87
	v_fma_f16 v87, v87, s8, v76
	v_fma_f16 v83, v86, s9, -v83
	v_fma_f16 v76, v86, s3, -v76
	v_mul_f16_e32 v78, 0x3a52, v78
	v_mul_f16_e32 v86, 0x2b26, v82
	v_fma_f16 v82, v82, s8, v78
	v_fma_f16 v86, v88, s9, -v86
	v_fma_f16 v78, v88, s3, -v78
	v_mul_f16_e32 v88, 0x3846, v89
	v_mul_f16_e32 v89, 0x3b00, v75
	v_fma_f16 v75, v75, s11, -v88
	v_fma_f16 v88, v3, s2, v88
	v_fma_f16 v3, v3, s7, v89
	v_mul_f16_e32 v89, 0x3846, v91
	v_fma_f16 v85, v85, s6, v92
	v_mul_f16_e32 v91, 0x3b00, v2
	v_fma_f16 v2, v2, s11, -v89
	v_fma_f16 v89, v84, s2, v89
	v_fma_f16 v84, v84, s7, v91
	v_add_f16_e32 v87, v87, v85
	v_add_f16_e32 v83, v83, v85
	;; [unrolled: 1-line block ×6, first 2 shown]
	v_fma_f16 v80, v77, s10, v88
	v_fma_f16 v75, v77, s10, v75
	;; [unrolled: 1-line block ×6, first 2 shown]
	v_sub_f16_e32 v2, v83, v3
	v_add_f16_e32 v3, v3, v83
	v_add_f16_e32 v83, v75, v85
	v_sub_f16_e32 v85, v85, v75
	v_add_f16_e32 v91, v86, v87
	v_sub_f16_e32 v86, v87, v86
	v_sub_f16_e32 v87, v82, v80
	v_add_f16_e32 v82, v80, v82
	v_add_f16_e32 v80, v30, v67
	;; [unrolled: 1-line block ×4, first 2 shown]
	v_sub_f16_e32 v84, v76, v84
	v_sub_f16_e32 v89, v78, v77
	v_add_f16_e32 v90, v77, v78
	v_add_f16_e32 v76, v34, v21
	;; [unrolled: 1-line block ×3, first 2 shown]
	v_or_b32_e32 v79, v79, v92
	v_add_f16_e32 v92, v76, v77
	v_add_f16_e32 v93, v29, v68
	;; [unrolled: 1-line block ×3, first 2 shown]
	v_pack_b32_f16 v2, v2, v83
	v_add_f16_e32 v78, v31, v22
	v_add_f16_e32 v94, v77, v93
	ds_write_b32 v96, v2 offset:4116
	v_pack_b32_f16 v2, v3, v85
	v_add_f16_e32 v94, v78, v94
	ds_write_b32 v96, v2 offset:5488
	v_pack_b32_f16 v2, v84, v90
	v_add_f16_e32 v95, v92, v81
	v_add_f16_sdwa v81, v94, v81 dst_sel:DWORD dst_unused:UNUSED_PAD src0_sel:DWORD src1_sel:WORD_1
	v_pack_b32_f16 v87, v91, v87
	ds_write_b32 v96, v2 offset:6860
	v_pack_b32_f16 v2, v86, v82
	ds_write_b32 v96, v87 offset:1372
	v_pack_b32_f16 v87, v88, v89
	ds_write_b32 v96, v2 offset:8232
	v_lshlrev_b32_e32 v2, 16, v81
	ds_write_b32 v96, v87 offset:2744
	v_or_b32_e32 v84, v2, v95
	v_sub_f16_e32 v19, v19, v70
	v_sub_f16_e32 v20, v20, v69
	;; [unrolled: 1-line block ×4, first 2 shown]
	ds_read2_b32 v[82:83], v96 offset0:98 offset1:147
	ds_read2_b32 v[2:3], v96 offset0:196 offset1:245
	ds_write2_b32 v96, v79, v84 offset1:49
	v_sub_f16_e32 v30, v30, v67
	v_sub_f16_e32 v29, v29, v68
	v_fma_f16 v34, v94, s6, v81
	v_add_f16_e32 v79, v21, v19
	v_add_f16_e32 v81, v22, v20
	;; [unrolled: 1-line block ×3, first 2 shown]
	v_sub_f16_e32 v35, v35, v74
	v_add_f16_e32 v69, v52, v71
	v_sub_f16_e32 v52, v52, v71
	v_add_f16_e32 v70, v49, v72
	;; [unrolled: 2-line block ×4, first 2 shown]
	v_sub_f16_e32 v38, v53, v38
	v_sub_f16_e32 v53, v75, v80
	;; [unrolled: 1-line block ×4, first 2 shown]
	v_add_f16_e32 v79, v79, v30
	v_sub_f16_e32 v80, v30, v21
	v_sub_f16_e32 v30, v19, v30
	v_add_f16_e32 v81, v81, v29
	v_sub_f16_e32 v84, v29, v22
	v_sub_f16_e32 v29, v20, v29
	;; [unrolled: 3-line block ×3, first 2 shown]
	v_mul_f16_e32 v72, 0x3a52, v72
	v_mul_f16_e32 v74, 0x3a52, v74
	;; [unrolled: 1-line block ×4, first 2 shown]
	v_fma_f16 v31, v92, s6, v95
	v_fma_f16 v85, v80, s7, v85
	;; [unrolled: 1-line block ×3, first 2 shown]
	v_fma_f16 v87, v53, s3, -v72
	v_fma_f16 v88, v73, s3, -v74
	v_add_f16_e32 v87, v87, v31
	v_add_f16_e32 v88, v88, v34
	v_fma_f16 v85, v79, s10, v85
	v_fma_f16 v86, v81, s10, v86
	v_sub_f16_e32 v19, v21, v19
	v_sub_f16_e32 v20, v22, v20
	v_mov_b32_e32 v132, v96
	v_add_f16_e32 v89, v86, v87
	v_sub_f16_e32 v90, v88, v85
	v_add_f16_e32 v92, v70, v68
	v_add_f16_e32 v94, v37, v52
	;; [unrolled: 1-line block ×3, first 2 shown]
	v_sub_f16_e32 v75, v76, v75
	v_sub_f16_e32 v76, v78, v77
	v_mul_f16_e32 v19, 0x3846, v19
	v_mul_f16_e32 v20, 0x3846, v20
	v_pack_b32_f16 v89, v89, v90
	v_add_f16_e32 v90, v69, v67
	v_sub_f16_e32 v91, v69, v67
	v_sub_f16_e32 v93, v70, v68
	;; [unrolled: 1-line block ×3, first 2 shown]
	v_add_f16_e32 v94, v94, v35
	v_sub_f16_e32 v95, v35, v37
	v_sub_f16_e32 v35, v52, v35
	v_add_f16_e32 v96, v96, v36
	v_sub_f16_e32 v97, v36, v38
	v_sub_f16_e32 v36, v49, v36
	;; [unrolled: 3-line block ×3, first 2 shown]
	v_sub_f16_e32 v37, v37, v52
	v_sub_f16_e32 v38, v38, v49
	v_fma_f16 v49, v75, s8, v72
	v_fma_f16 v52, v76, s8, v74
	;; [unrolled: 1-line block ×4, first 2 shown]
	v_sub_f16_e32 v67, v67, v71
	v_add_f16_e32 v90, v71, v90
	v_add_f16_e32 v49, v49, v31
	;; [unrolled: 1-line block ×3, first 2 shown]
	v_fma_f16 v54, v79, s10, v54
	v_fma_f16 v69, v81, s10, v69
	v_mul_f16_e32 v67, 0x3a52, v67
	v_mul_f16_e32 v68, 0x3a52, v68
	s_waitcnt lgkmcnt(2)
	v_add_f16_e32 v98, v90, v82
	v_add_f16_sdwa v82, v92, v82 dst_sel:DWORD dst_unused:UNUSED_PAD src0_sel:DWORD src1_sel:WORD_1
	v_add_f16_e32 v70, v69, v49
	v_sub_f16_e32 v71, v52, v54
	v_mul_f16_e32 v37, 0x3846, v37
	v_mul_f16_e32 v38, 0x3846, v38
	v_fma_f16 v90, v90, s6, v98
	v_fma_f16 v92, v92, s6, v82
	v_fma_f16 v101, v91, s3, -v67
	v_fma_f16 v102, v93, s3, -v68
	v_pack_b32_f16 v70, v70, v71
	v_fma_f16 v67, v21, s8, v67
	v_fma_f16 v68, v22, s8, v68
	;; [unrolled: 1-line block ×4, first 2 shown]
	v_add_f16_e32 v67, v67, v90
	v_add_f16_e32 v68, v68, v92
	v_fma_f16 v71, v94, s10, v71
	v_fma_f16 v72, v96, s10, v72
	v_add_f16_e32 v74, v72, v67
	v_sub_f16_e32 v77, v68, v71
	v_pack_b32_f16 v74, v74, v77
	ds_write2_b32 v159, v70, v74 offset0:136 offset1:185
	v_mul_f16_e32 v70, 0x2b26, v75
	v_fma_f16 v53, v53, s9, -v70
	v_mul_f16_e32 v70, 0x2b26, v76
	v_mul_f16_e32 v99, 0x3b00, v35
	;; [unrolled: 1-line block ×3, first 2 shown]
	v_fma_f16 v70, v73, s9, -v70
	v_fma_f16 v19, v30, s11, -v19
	;; [unrolled: 1-line block ×3, first 2 shown]
	v_mul_f16_e32 v21, 0x2b26, v21
	v_mul_f16_e32 v22, 0x2b26, v22
	v_fma_f16 v99, v95, s7, v99
	v_fma_f16 v100, v97, s7, v100
	v_add_f16_e32 v29, v53, v31
	v_add_f16_e32 v30, v70, v34
	v_fma_f16 v19, v79, s10, v19
	v_fma_f16 v20, v81, s10, v20
	v_fma_f16 v21, v91, s9, -v21
	v_fma_f16 v22, v93, s9, -v22
	;; [unrolled: 1-line block ×4, first 2 shown]
	v_add_f16_e32 v101, v101, v90
	v_add_f16_e32 v102, v102, v92
	v_fma_f16 v99, v94, s10, v99
	v_fma_f16 v100, v96, s10, v100
	v_add_f16_e32 v21, v21, v90
	v_add_f16_e32 v22, v22, v92
	v_fma_f16 v31, v94, s10, v31
	v_fma_f16 v34, v96, s10, v34
	v_sub_f16_e32 v35, v29, v20
	v_add_f16_e32 v36, v19, v30
	v_add_f16_e32 v103, v100, v101
	v_sub_f16_e32 v104, v102, v99
	v_pack_b32_f16 v35, v35, v36
	v_sub_f16_e32 v36, v21, v34
	v_add_f16_e32 v37, v31, v22
	v_add_f16_e32 v20, v20, v29
	v_sub_f16_e32 v19, v30, v19
	v_add_f16_e32 v21, v34, v21
	v_sub_f16_e32 v22, v22, v31
	v_pack_b32_f16 v103, v103, v104
	v_accvgpr_read_b32 v104, a57
	v_pack_b32_f16 v19, v20, v19
	v_pack_b32_f16 v20, v21, v22
	ds_write2_b32 v104, v89, v103 offset0:95 offset1:144
	v_add_f16_e32 v89, v42, v59
	v_sub_f16_e32 v42, v42, v59
	v_add_f16_e32 v59, v39, v60
	v_sub_f16_e32 v39, v39, v60
	;; [unrolled: 2-line block ×3, first 2 shown]
	v_add_f16_e32 v64, v26, v63
	ds_write2_b32 v163, v19, v20 offset0:141 offset1:190
	v_sub_f16_e32 v19, v87, v86
	v_add_f16_e32 v20, v85, v88
	v_sub_f16_e32 v21, v101, v100
	v_add_f16_e32 v22, v99, v102
	;; [unrolled: 2-line block ×5, first 2 shown]
	v_add_f16_e32 v103, v64, v59
	v_pack_b32_f16 v19, v19, v20
	v_pack_b32_f16 v20, v21, v22
	v_add_f16_e32 v40, v63, v40
	v_add_f16_e32 v103, v44, v103
	ds_write2_b32 v135, v19, v20 offset0:100 offset1:149
	v_sub_f16_e32 v19, v49, v69
	v_add_f16_e32 v20, v54, v52
	v_sub_f16_e32 v21, v67, v72
	v_add_f16_e32 v22, v71, v68
	v_add_f16_e32 v104, v40, v83
	v_add_f16_sdwa v83, v103, v83 dst_sel:DWORD dst_unused:UNUSED_PAD src0_sel:DWORD src1_sel:WORD_1
	v_pack_b32_f16 v19, v19, v20
	v_pack_b32_f16 v20, v21, v22
	v_add_f16_e32 v105, v45, v66
	v_sub_f16_e32 v45, v45, v66
	v_add_f16_e32 v66, v46, v65
	v_sub_f16_e32 v46, v46, v65
	;; [unrolled: 2-line block ×6, first 2 shown]
	v_sub_f16_e32 v57, v60, v89
	v_sub_f16_e32 v60, v63, v60
	;; [unrolled: 1-line block ×6, first 2 shown]
	ds_write2_b32 v209, v19, v20 offset0:59 offset1:108
	v_lshlrev_b32_e32 v19, 16, v82
	v_lshlrev_b32_e32 v20, 16, v83
	v_add_f16_e32 v107, v32, v25
	v_sub_f16_e32 v25, v25, v42
	v_add_f16_e32 v109, v33, v26
	v_sub_f16_e32 v26, v26, v39
	v_mul_f16_e32 v108, 0x3846, v108
	v_mul_f16_e32 v110, 0x3846, v110
	;; [unrolled: 1-line block ×4, first 2 shown]
	v_or_b32_e32 v19, v19, v98
	v_or_b32_e32 v20, v20, v104
	v_add_f16_e32 v107, v107, v42
	v_add_f16_e32 v109, v109, v39
	v_fma_f16 v40, v40, s6, v104
	v_fma_f16 v103, v103, s6, v83
	v_fma_f16 v111, v57, s9, -v111
	v_fma_f16 v112, v106, s9, -v112
	;; [unrolled: 1-line block ×4, first 2 shown]
	ds_write2_b32 v132, v19, v20 offset0:98 offset1:147
	v_sub_f16_e32 v19, v89, v63
	v_sub_f16_e32 v20, v59, v44
	v_add_f16_e32 v111, v111, v40
	v_add_f16_e32 v112, v112, v103
	v_fma_f16 v113, v107, s10, v113
	v_fma_f16 v114, v109, s10, v114
	v_pack_b32_f16 v36, v36, v37
	v_sub_f16_e32 v21, v42, v32
	v_sub_f16_e32 v22, v39, v33
	v_mul_f16_e32 v19, 0x3a52, v19
	v_mul_f16_e32 v20, 0x3a52, v20
	v_add_f16_e32 v115, v114, v111
	v_sub_f16_e32 v116, v112, v113
	ds_write2_b32 v175, v35, v36 offset0:54 offset1:103
	v_fma_f16 v33, v60, s8, v19
	v_fma_f16 v34, v64, s8, v20
	;; [unrolled: 1-line block ×4, first 2 shown]
	v_pack_b32_f16 v115, v115, v116
	v_add_f16_e32 v116, v65, v105
	v_add_f16_e32 v118, v61, v66
	v_sub_f16_e32 v29, v105, v62
	v_sub_f16_e32 v30, v66, v58
	v_add_f16_e32 v33, v33, v40
	v_add_f16_e32 v34, v34, v103
	v_fma_f16 v35, v107, s10, v35
	v_fma_f16 v36, v109, s10, v36
	v_mul_f16_e32 v25, 0x3b00, v25
	v_sub_f16_e32 v117, v65, v105
	v_sub_f16_e32 v65, v62, v65
	;; [unrolled: 1-line block ×4, first 2 shown]
	v_add_f16_e32 v120, v50, v56
	v_sub_f16_e32 v121, v50, v56
	v_sub_f16_e32 v56, v56, v45
	v_add_f16_e32 v122, v51, v55
	v_sub_f16_e32 v123, v51, v55
	v_sub_f16_e32 v55, v55, v46
	v_add_f16_e32 v116, v62, v116
	v_add_f16_e32 v118, v58, v118
	;; [unrolled: 1-line block ×3, first 2 shown]
	v_sub_f16_e32 v38, v34, v35
	v_mul_f16_e32 v29, 0x3a52, v29
	v_mul_f16_e32 v30, 0x3a52, v30
	v_fma_f16 v21, v21, s7, v25
	v_mul_f16_e32 v25, 0x3b00, v26
	s_waitcnt lgkmcnt(8)
	v_add_f16_e32 v124, v116, v2
	v_add_f16_sdwa v2, v118, v2 dst_sel:DWORD dst_unused:UNUSED_PAD src0_sel:DWORD src1_sel:WORD_1
	v_sub_f16_e32 v31, v45, v50
	v_sub_f16_e32 v32, v46, v51
	v_pack_b32_f16 v37, v37, v38
	v_fma_f16 v38, v65, s8, v29
	v_fma_f16 v39, v61, s8, v30
	v_fma_f16 v22, v22, s7, v25
	v_fma_f16 v25, v117, s3, -v29
	v_fma_f16 v26, v119, s3, -v30
	v_mul_f16_e32 v29, 0x3b00, v56
	v_mul_f16_e32 v30, 0x3b00, v55
	v_add_f16_e32 v120, v120, v45
	v_add_f16_e32 v122, v122, v46
	v_mul_f16_e32 v121, 0x3846, v121
	v_mul_f16_e32 v123, 0x3846, v123
	v_fma_f16 v116, v116, s6, v124
	v_fma_f16 v118, v118, s6, v2
	v_fma_f16 v19, v57, s3, -v19
	v_fma_f16 v20, v106, s3, -v20
	v_fma_f16 v29, v31, s7, v29
	v_fma_f16 v30, v32, s7, v30
	;; [unrolled: 1-line block ×4, first 2 shown]
	v_add_f16_e32 v19, v19, v40
	v_add_f16_e32 v20, v20, v103
	v_fma_f16 v21, v107, s10, v21
	v_fma_f16 v22, v109, s10, v22
	v_add_f16_e32 v25, v25, v116
	v_add_f16_e32 v26, v26, v118
	v_fma_f16 v29, v120, s10, v29
	v_fma_f16 v30, v122, s10, v30
	;; [unrolled: 4-line block ×3, first 2 shown]
	v_add_f16_e32 v31, v22, v19
	v_sub_f16_e32 v32, v20, v21
	v_sub_f16_e32 v19, v19, v22
	v_add_f16_e32 v20, v21, v20
	v_sub_f16_e32 v21, v25, v30
	v_add_f16_e32 v22, v29, v26
	v_add_f16_e32 v45, v44, v38
	v_sub_f16_e32 v46, v39, v42
	v_pack_b32_f16 v19, v19, v20
	v_pack_b32_f16 v20, v21, v22
	v_mul_f16_e32 v125, 0x2b26, v65
	v_mul_f16_e32 v126, 0x2b26, v61
	v_pack_b32_f16 v45, v45, v46
	ds_write2_b32 v191, v19, v20 offset0:70 offset1:119
	v_sub_f16_e32 v19, v33, v36
	v_add_f16_e32 v20, v35, v34
	v_sub_f16_e32 v21, v38, v44
	v_add_f16_e32 v22, v42, v39
	v_fma_f16 v125, v117, s9, -v125
	v_fma_f16 v126, v119, s9, -v126
	;; [unrolled: 1-line block ×4, first 2 shown]
	ds_write2_b32 v173, v37, v45 offset0:106 offset1:155
	v_pack_b32_f16 v31, v31, v32
	v_add_f16_e32 v32, v30, v25
	v_sub_f16_e32 v37, v26, v29
	v_pack_b32_f16 v19, v19, v20
	v_pack_b32_f16 v20, v21, v22
	v_add_f16_e32 v125, v125, v116
	v_add_f16_e32 v126, v126, v118
	v_fma_f16 v127, v120, s10, v127
	v_fma_f16 v128, v122, s10, v128
	v_pack_b32_f16 v32, v32, v37
	ds_write2_b32 v209, v19, v20 offset0:157 offset1:206
	v_add_f16_e32 v19, v16, v41
	v_add_f16_e32 v20, v7, v48
	;; [unrolled: 1-line block ×4, first 2 shown]
	ds_write2_b32 v161, v31, v32 offset0:65 offset1:114
	v_sub_f16_e32 v31, v111, v114
	v_add_f16_e32 v32, v113, v112
	v_sub_f16_e32 v37, v125, v128
	v_add_f16_e32 v40, v127, v126
	v_add_f16_e32 v21, v18, v13
	;; [unrolled: 1-line block ×5, first 2 shown]
	v_pack_b32_f16 v31, v31, v32
	v_pack_b32_f16 v32, v37, v40
	v_add_f16_e32 v22, v21, v22
	v_add_f16_e32 v30, v29, v30
	ds_write2_b32 v175, v31, v32 offset0:152 offset1:201
	v_add_f16_e32 v31, v22, v3
	v_add_f16_sdwa v3, v30, v3 dst_sel:DWORD dst_unused:UNUSED_PAD src0_sel:DWORD src1_sel:WORD_1
	v_lshlrev_b32_e32 v2, 16, v2
	v_lshlrev_b32_e32 v32, 16, v3
	v_or_b32_e32 v2, v2, v124
	v_or_b32_e32 v32, v32, v31
	v_sub_f16_e32 v7, v7, v48
	v_sub_f16_e32 v13, v13, v18
	ds_write2_b32 v132, v2, v32 offset0:196 offset1:245
	v_sub_f16_e32 v2, v16, v41
	v_sub_f16_e32 v8, v8, v47
	;; [unrolled: 1-line block ×8, first 2 shown]
	v_add_f16_e32 v25, v13, v7
	v_sub_f16_e32 v15, v15, v43
	v_sub_f16_e32 v21, v29, v26
	;; [unrolled: 1-line block ×5, first 2 shown]
	v_add_f16_e32 v2, v25, v2
	v_add_f16_e32 v25, v14, v8
	v_sub_f16_e32 v29, v14, v8
	v_sub_f16_e32 v14, v15, v14
	;; [unrolled: 1-line block ×3, first 2 shown]
	v_add_f16_e32 v15, v25, v15
	v_mul_f16_e32 v17, 0x3a52, v17
	v_mul_f16_e32 v25, 0x2b26, v18
	v_fma_f16 v18, v18, s8, v17
	v_fma_f16 v25, v16, s9, -v25
	v_fma_f16 v16, v16, s3, -v17
	v_mul_f16_e32 v17, 0x3a52, v20
	v_mul_f16_e32 v20, 0x2b26, v21
	v_fma_f16 v21, v21, s8, v17
	v_fma_f16 v20, v19, s9, -v20
	v_fma_f16 v17, v19, s3, -v17
	v_mul_f16_e32 v19, 0x3846, v26
	v_mul_f16_e32 v26, 0x3b00, v7
	v_fma_f16 v7, v7, s11, -v19
	v_fma_f16 v19, v13, s2, v19
	v_fma_f16 v13, v13, s7, v26
	v_mul_f16_e32 v26, 0x3846, v29
	v_mul_f16_e32 v29, 0x3b00, v8
	v_fma_f16 v22, v22, s6, v31
	v_fma_f16 v3, v30, s6, v3
	v_fma_f16 v8, v8, s11, -v26
	v_fma_f16 v26, v14, s2, v26
	v_fma_f16 v14, v14, s7, v29
	v_add_f16_e32 v18, v18, v22
	v_add_f16_e32 v25, v25, v22
	;; [unrolled: 1-line block ×6, first 2 shown]
	v_fma_f16 v17, v2, s10, v19
	v_fma_f16 v7, v2, s10, v7
	;; [unrolled: 1-line block ×6, first 2 shown]
	v_sub_f16_e32 v15, v25, v8
	v_add_f16_e32 v8, v8, v25
	v_add_f16_e32 v19, v7, v20
	v_sub_f16_e32 v7, v20, v7
	v_add_f16_e32 v20, v14, v16
	v_sub_f16_e32 v14, v16, v14
	v_sub_f16_e32 v16, v3, v2
	v_add_f16_e32 v2, v2, v3
	v_add_f16_e32 v3, v13, v18
	v_sub_f16_e32 v13, v18, v13
	v_sub_f16_e32 v18, v21, v17
	v_add_f16_e32 v17, v17, v21
	v_add_f16_e32 v21, v1, v27
	;; [unrolled: 1-line block ×4, first 2 shown]
	v_sub_f16_e32 v5, v5, v23
	v_add_f16_e32 v23, v6, v24
	v_sub_f16_e32 v6, v6, v24
	v_add_f16_e32 v24, v9, v12
	;; [unrolled: 2-line block ×4, first 2 shown]
	v_sub_f16_e32 v26, v25, v21
	v_sub_f16_e32 v21, v21, v24
	v_sub_f16_e32 v25, v24, v25
	v_add_f16_e32 v11, v24, v11
	v_add_f16_e32 v24, v23, v22
	v_sub_f16_e32 v1, v1, v27
	v_sub_f16_e32 v27, v23, v22
	v_sub_f16_e32 v22, v22, v12
	v_sub_f16_e32 v23, v12, v23
	v_add_f16_e32 v12, v12, v24
	v_add_f16_e32 v24, v9, v5
	v_sub_f16_e32 v4, v4, v28
	;; [unrolled: 6-line block ×3, first 2 shown]
	v_sub_f16_e32 v10, v4, v10
	v_sub_f16_e32 v6, v6, v4
	v_add_f16_e32 v4, v24, v4
	v_add_f16_e32 v24, v11, v0
	v_add_f16_sdwa v0, v12, v0 dst_sel:DWORD dst_unused:UNUSED_PAD src0_sel:DWORD src1_sel:WORD_1
	v_lshlrev_b32_e32 v30, 16, v0
	v_fma_f16 v0, v12, s6, v0
	v_mul_f16_e32 v12, 0x3a52, v21
	v_or_b32_e32 v30, v30, v24
	v_fma_f16 v11, v11, s6, v24
	v_mul_f16_e32 v21, 0x2b26, v25
	v_fma_f16 v24, v25, s8, v12
	v_mul_f16_e32 v22, 0x3a52, v22
	v_mul_f16_e32 v25, 0x2b26, v23
	v_fma_f16 v21, v26, s9, -v21
	v_fma_f16 v12, v26, s3, -v12
	v_fma_f16 v23, v23, s8, v22
	v_fma_f16 v25, v27, s9, -v25
	v_fma_f16 v22, v27, s3, -v22
	v_mul_f16_e32 v26, 0x3846, v28
	v_mul_f16_e32 v27, 0x3b00, v5
	v_fma_f16 v5, v5, s11, -v26
	v_fma_f16 v26, v9, s2, v26
	v_fma_f16 v9, v9, s7, v27
	v_mul_f16_e32 v27, 0x3846, v29
	v_mul_f16_e32 v28, 0x3b00, v6
	v_fma_f16 v6, v6, s11, -v27
	v_fma_f16 v27, v10, s2, v27
	v_fma_f16 v10, v10, s7, v28
	v_add_f16_e32 v24, v24, v11
	v_add_f16_e32 v21, v21, v11
	;; [unrolled: 1-line block ×6, first 2 shown]
	v_fma_f16 v22, v1, s10, v26
	v_fma_f16 v5, v1, s10, v5
	v_fma_f16 v1, v1, s10, v9
	v_fma_f16 v9, v4, s10, v27
	v_fma_f16 v6, v4, s10, v6
	v_fma_f16 v4, v4, s10, v10
	v_sub_f16_e32 v10, v21, v6
	v_add_f16_e32 v6, v6, v21
	v_add_f16_e32 v21, v5, v23
	v_sub_f16_e32 v5, v23, v5
	v_add_f16_e32 v23, v4, v11
	v_sub_f16_e32 v4, v11, v4
	v_sub_f16_e32 v11, v0, v1
	v_add_f16_e32 v0, v1, v0
	v_add_f16_e32 v1, v9, v24
	v_sub_f16_e32 v9, v24, v9
	v_sub_f16_e32 v24, v12, v22
	v_pack_b32_f16 v3, v3, v18
	v_pack_b32_f16 v1, v1, v24
	;; [unrolled: 1-line block ×3, first 2 shown]
	ds_write2_b32 v207, v3, v1 offset0:76 offset1:125
	v_pack_b32_f16 v1, v23, v11
	v_pack_b32_f16 v15, v15, v19
	ds_write2_b32 v161, v16, v1 offset0:163 offset1:212
	v_pack_b32_f16 v1, v10, v21
	v_add_f16_e32 v129, v128, v125
	v_sub_f16_e32 v130, v126, v127
	v_add_f16_e32 v12, v22, v12
	v_pack_b32_f16 v7, v8, v7
	v_pack_b32_f16 v2, v14, v2
	ds_write2_b32 v134, v15, v1 offset0:122 offset1:171
	v_pack_b32_f16 v1, v6, v5
	v_pack_b32_f16 v0, v4, v0
	;; [unrolled: 1-line block ×3, first 2 shown]
	v_accvgpr_read_b32 v130, a58
	v_pack_b32_f16 v8, v13, v17
	ds_write2_b32 v165, v7, v1 offset0:81 offset1:130
	ds_write2_b32 v191, v2, v0 offset0:168 offset1:217
	v_pack_b32_f16 v0, v9, v12
	v_accvgpr_read_b32 v1, a56
	ds_write2_b32 v130, v115, v129 offset0:111 offset1:160
	ds_write_b32 v132, v30 offset:1176
	ds_write2_b32 v1, v8, v0 offset0:127 offset1:176
	s_waitcnt lgkmcnt(0)
	; wave barrier
	s_waitcnt lgkmcnt(0)
	ds_read2_b32 v[6:7], v132 offset1:49
	s_mov_b32 s2, 0xb4e81b4f
	s_mov_b32 s3, 0x3f3b4e81
	s_movk_i32 s7, 0x1ff
	s_movk_i32 s8, 0xffe
	s_waitcnt lgkmcnt(0)
	v_lshrrev_b32_e32 v4, 16, v6
	v_mul_f16_sdwa v0, v169, v4 dst_sel:DWORD dst_unused:UNUSED_PAD src0_sel:WORD_1 src1_sel:DWORD
	v_fma_f16 v0, v169, v6, v0
	v_cvt_f32_f16_e32 v0, v0
	v_mov_b32_e32 v2, s0
	v_mov_b32_e32 v3, s1
	v_mul_f16_sdwa v6, v169, v6 dst_sel:DWORD dst_unused:UNUSED_PAD src0_sel:WORD_1 src1_sel:DWORD
	v_cvt_f64_f32_e32 v[0:1], v0
	v_mul_f64 v[0:1], v[0:1], s[2:3]
	v_and_or_b32 v0, v1, s7, v0
	v_cmp_ne_u32_e32 vcc, 0, v0
	v_lshrrev_b32_e32 v5, 8, v1
	v_bfe_u32 v8, v1, 20, 11
	v_cndmask_b32_e64 v0, 0, 1, vcc
	v_and_or_b32 v0, v5, s8, v0
	v_sub_u32_e32 v9, 0x3f1, v8
	v_or_b32_e32 v5, 0x1000, v0
	v_med3_i32 v9, v9, 0, 13
	v_lshrrev_b32_e32 v10, v9, v5
	v_lshlrev_b32_e32 v9, v9, v10
	v_cmp_ne_u32_e32 vcc, v9, v5
	v_add_u32_e32 v8, 0xfffffc10, v8
	v_lshl_or_b32 v9, v8, 12, v0
	v_cndmask_b32_e64 v5, 0, 1, vcc
	v_or_b32_e32 v5, v10, v5
	v_cmp_gt_i32_e32 vcc, 1, v8
	v_fma_f16 v4, v169, v4, -v6
	v_mov_b32_e32 v18, 0x7c00
	v_cndmask_b32_e32 v5, v9, v5, vcc
	v_and_b32_e32 v9, 7, v5
	v_cmp_lt_i32_e32 vcc, 5, v9
	v_cmp_eq_u32_e64 s[0:1], 3, v9
	v_lshrrev_b32_e32 v5, 2, v5
	s_or_b64 vcc, s[0:1], vcc
	v_addc_co_u32_e32 v5, vcc, 0, v5, vcc
	v_cmp_gt_i32_e32 vcc, 31, v8
	v_cvt_f32_f16_e32 v4, v4
	s_movk_i32 s9, 0x40f
	v_cndmask_b32_e32 v5, v18, v5, vcc
	v_cmp_ne_u32_e32 vcc, 0, v0
	s_mov_b32 s10, 0x8000
	v_and_b32_sdwa v11, v1, s10 dst_sel:DWORD dst_unused:UNUSED_PAD src0_sel:WORD_1 src1_sel:DWORD
	v_cndmask_b32_e64 v0, 0, 1, vcc
	v_lshl_or_b32 v0, v0, 9, v18
	v_cmp_eq_u32_e32 vcc, s9, v8
	v_accvgpr_read_b32 v14, a34
	v_accvgpr_read_b32 v15, a36
	v_cndmask_b32_e32 v10, v5, v0, vcc
	v_cvt_f64_f32_e32 v[0:1], v4
	v_mul_f64 v[0:1], v[0:1], s[2:3]
	v_and_or_b32 v0, v1, s7, v0
	v_cmp_ne_u32_e32 vcc, 0, v0
	v_lshrrev_b32_e32 v4, 8, v1
	v_bfe_u32 v5, v1, 20, 11
	v_cndmask_b32_e64 v0, 0, 1, vcc
	v_and_or_b32 v0, v4, s8, v0
	v_sub_u32_e32 v6, 0x3f1, v5
	v_or_b32_e32 v4, 0x1000, v0
	v_med3_i32 v6, v6, 0, 13
	v_lshrrev_b32_e32 v8, v6, v4
	v_lshlrev_b32_e32 v6, v6, v8
	v_cmp_ne_u32_e32 vcc, v6, v4
	v_add_u32_e32 v5, 0xfffffc10, v5
	v_lshl_or_b32 v6, v5, 12, v0
	v_cndmask_b32_e64 v4, 0, 1, vcc
	v_or_b32_e32 v4, v8, v4
	v_cmp_gt_i32_e32 vcc, 1, v5
	v_lshrrev_b32_e32 v1, 16, v1
	v_accvgpr_read_b32 v8, a38
	v_cndmask_b32_e32 v4, v6, v4, vcc
	v_and_b32_e32 v6, 7, v4
	v_cmp_lt_i32_e32 vcc, 5, v6
	v_cmp_eq_u32_e64 s[0:1], 3, v6
	v_lshrrev_b32_e32 v4, 2, v4
	s_or_b64 vcc, s[0:1], vcc
	v_addc_co_u32_e32 v4, vcc, 0, v4, vcc
	v_cmp_gt_i32_e32 vcc, 31, v5
	v_lshl_add_u64 v[2:3], v[14:15], 2, v[2:3]
	s_mov_b32 s6, 0xffff
	v_cndmask_b32_e32 v4, v18, v4, vcc
	v_cmp_ne_u32_e32 vcc, 0, v0
	s_mul_i32 s11, s5, 0x55c
	v_mov_b32_e32 v19, 0xffffe09c
	v_cndmask_b32_e64 v0, 0, 1, vcc
	v_lshl_or_b32 v0, v0, 9, v18
	v_cmp_eq_u32_e32 vcc, s9, v5
	v_accvgpr_read_b32 v53, a61
	v_accvgpr_read_b32 v20, a30
	v_cndmask_b32_e32 v0, v4, v0, vcc
	v_and_or_b32 v12, v1, s10, v0
	ds_read2_b32 v[0:1], v159 offset0:38 offset1:87
	v_mad_u64_u32 v[4:5], s[0:1], s4, v8, 0
	v_mov_b32_e32 v6, v5
	v_mad_u64_u32 v[8:9], s[0:1], s5, v8, v[6:7]
	v_mov_b32_e32 v5, v8
	s_waitcnt lgkmcnt(0)
	v_lshrrev_b32_e32 v8, 16, v1
	v_mul_f16_sdwa v9, v203, v8 dst_sel:DWORD dst_unused:UNUSED_PAD src0_sel:WORD_1 src1_sel:DWORD
	v_fma_f16 v9, v203, v1, v9
	v_cvt_f32_f16_e32 v9, v9
	v_lshl_add_u64 v[2:3], v[4:5], 2, v[2:3]
	v_bitop3_b32 v6, v11, s6, v10 bitop3:0xc8
	v_lshl_or_b32 v6, v12, 16, v6
	v_cvt_f64_f32_e32 v[4:5], v9
	v_mul_f64 v[4:5], v[4:5], s[2:3]
	v_and_or_b32 v4, v5, s7, v4
	v_cmp_ne_u32_e32 vcc, 0, v4
	global_store_dword v[2:3], v6, off
	v_lshrrev_b32_e32 v6, 8, v5
	v_cndmask_b32_e64 v4, 0, 1, vcc
	v_bfe_u32 v9, v5, 20, 11
	v_and_or_b32 v4, v6, s8, v4
	v_sub_u32_e32 v10, 0x3f1, v9
	v_or_b32_e32 v6, 0x1000, v4
	v_med3_i32 v10, v10, 0, 13
	v_lshrrev_b32_e32 v11, v10, v6
	v_lshlrev_b32_e32 v10, v10, v11
	v_cmp_ne_u32_e32 vcc, v10, v6
	v_add_u32_e32 v9, 0xfffffc10, v9
	v_lshl_or_b32 v10, v9, 12, v4
	v_cndmask_b32_e64 v6, 0, 1, vcc
	v_or_b32_e32 v6, v11, v6
	v_cmp_gt_i32_e32 vcc, 1, v9
	v_mul_f16_sdwa v1, v203, v1 dst_sel:DWORD dst_unused:UNUSED_PAD src0_sel:WORD_1 src1_sel:DWORD
	v_fma_f16 v1, v203, v8, -v1
	v_cndmask_b32_e32 v6, v10, v6, vcc
	v_and_b32_e32 v10, 7, v6
	v_cmp_lt_i32_e32 vcc, 5, v10
	v_cmp_eq_u32_e64 s[0:1], 3, v10
	v_lshrrev_b32_e32 v6, 2, v6
	s_or_b64 vcc, s[0:1], vcc
	v_addc_co_u32_e32 v6, vcc, 0, v6, vcc
	v_cmp_gt_i32_e32 vcc, 31, v9
	v_cvt_f32_f16_e32 v1, v1
	v_and_b32_sdwa v10, v5, s10 dst_sel:DWORD dst_unused:UNUSED_PAD src0_sel:WORD_1 src1_sel:DWORD
	v_cndmask_b32_e32 v6, v18, v6, vcc
	v_cmp_ne_u32_e32 vcc, 0, v4
	v_accvgpr_read_b32 v21, a62
	s_nop 0
	v_cndmask_b32_e64 v4, 0, 1, vcc
	v_lshl_or_b32 v4, v4, 9, v18
	v_cmp_eq_u32_e32 vcc, s9, v9
	s_nop 1
	v_cndmask_b32_e32 v6, v6, v4, vcc
	v_cvt_f64_f32_e32 v[4:5], v1
	v_mul_f64 v[4:5], v[4:5], s[2:3]
	v_and_or_b32 v1, v5, s7, v4
	v_cmp_ne_u32_e32 vcc, 0, v1
	v_lshrrev_b32_e32 v4, 8, v5
	v_bfe_u32 v8, v5, 20, 11
	v_cndmask_b32_e64 v1, 0, 1, vcc
	v_and_or_b32 v1, v4, s8, v1
	v_sub_u32_e32 v9, 0x3f1, v8
	v_or_b32_e32 v4, 0x1000, v1
	v_med3_i32 v9, v9, 0, 13
	v_lshrrev_b32_e32 v11, v9, v4
	v_lshlrev_b32_e32 v9, v9, v11
	v_cmp_ne_u32_e32 vcc, v9, v4
	v_add_u32_e32 v8, 0xfffffc10, v8
	v_lshl_or_b32 v9, v8, 12, v1
	v_cndmask_b32_e64 v4, 0, 1, vcc
	v_or_b32_e32 v4, v11, v4
	v_cmp_gt_i32_e32 vcc, 1, v8
	s_nop 1
	v_cndmask_b32_e32 v4, v9, v4, vcc
	v_and_b32_e32 v9, 7, v4
	v_cmp_lt_i32_e32 vcc, 5, v9
	v_cmp_eq_u32_e64 s[0:1], 3, v9
	v_lshrrev_b32_e32 v4, 2, v4
	s_or_b64 vcc, s[0:1], vcc
	v_addc_co_u32_e32 v4, vcc, 0, v4, vcc
	v_cmp_gt_i32_e32 vcc, 31, v8
	s_nop 1
	v_cndmask_b32_e32 v4, v18, v4, vcc
	v_cmp_ne_u32_e32 vcc, 0, v1
	s_nop 1
	v_cndmask_b32_e64 v1, 0, 1, vcc
	v_cmp_eq_u32_e32 vcc, s9, v8
	ds_read2_b32 v[8:9], v207 offset0:174 offset1:223
	v_lshl_or_b32 v1, v1, 9, v18
	v_cndmask_b32_e32 v1, v4, v1, vcc
	v_lshrrev_b32_e32 v4, 16, v5
	v_and_or_b32 v1, v4, s10, v1
	v_bitop3_b32 v4, v10, s6, v6 bitop3:0xc8
	s_waitcnt lgkmcnt(0)
	v_lshrrev_b32_e32 v6, 16, v8
	v_lshl_or_b32 v1, v1, 16, v4
	v_mad_u64_u32 v[4:5], s[0:1], s4, v153, v[2:3]
	v_mul_f16_sdwa v2, v177, v6 dst_sel:DWORD dst_unused:UNUSED_PAD src0_sel:WORD_1 src1_sel:DWORD
	v_fma_f16 v2, v177, v8, v2
	v_cvt_f32_f16_e32 v2, v2
	v_add_u32_e32 v5, s11, v5
	global_store_dword v[4:5], v1, off
	v_mul_f16_sdwa v8, v177, v8 dst_sel:DWORD dst_unused:UNUSED_PAD src0_sel:WORD_1 src1_sel:DWORD
	v_cvt_f64_f32_e32 v[2:3], v2
	v_mul_f64 v[2:3], v[2:3], s[2:3]
	v_and_or_b32 v1, v3, s7, v2
	v_cmp_ne_u32_e32 vcc, 0, v1
	v_lshrrev_b32_e32 v2, 8, v3
	v_bfe_u32 v10, v3, 20, 11
	v_cndmask_b32_e64 v1, 0, 1, vcc
	v_and_or_b32 v1, v2, s8, v1
	v_sub_u32_e32 v11, 0x3f1, v10
	v_or_b32_e32 v2, 0x1000, v1
	v_med3_i32 v11, v11, 0, 13
	v_lshrrev_b32_e32 v12, v11, v2
	v_lshlrev_b32_e32 v11, v11, v12
	v_cmp_ne_u32_e32 vcc, v11, v2
	v_add_u32_e32 v10, 0xfffffc10, v10
	v_lshl_or_b32 v11, v10, 12, v1
	v_cndmask_b32_e64 v2, 0, 1, vcc
	v_or_b32_e32 v2, v12, v2
	v_cmp_gt_i32_e32 vcc, 1, v10
	v_fma_f16 v6, v177, v6, -v8
	v_cvt_f32_f16_e32 v6, v6
	v_cndmask_b32_e32 v2, v11, v2, vcc
	v_and_b32_e32 v11, 7, v2
	v_cmp_lt_i32_e32 vcc, 5, v11
	v_cmp_eq_u32_e64 s[0:1], 3, v11
	v_lshrrev_b32_e32 v2, 2, v2
	s_or_b64 vcc, s[0:1], vcc
	v_addc_co_u32_e32 v2, vcc, 0, v2, vcc
	v_cmp_gt_i32_e32 vcc, 31, v10
	v_and_b32_sdwa v8, v3, s10 dst_sel:DWORD dst_unused:UNUSED_PAD src0_sel:WORD_1 src1_sel:DWORD
	s_nop 0
	v_cndmask_b32_e32 v2, v18, v2, vcc
	v_cmp_ne_u32_e32 vcc, 0, v1
	s_nop 1
	v_cndmask_b32_e64 v1, 0, 1, vcc
	v_lshl_or_b32 v1, v1, 9, v18
	v_cmp_eq_u32_e32 vcc, s9, v10
	s_nop 1
	v_cndmask_b32_e32 v1, v2, v1, vcc
	v_cvt_f64_f32_e32 v[2:3], v6
	v_mul_f64 v[10:11], v[2:3], s[2:3]
	v_and_or_b32 v2, v11, s7, v10
	v_cmp_ne_u32_e32 vcc, 0, v2
	v_lshrrev_b32_e32 v3, 8, v11
	v_bfe_u32 v6, v11, 20, 11
	v_cndmask_b32_e64 v2, 0, 1, vcc
	v_and_or_b32 v2, v3, s8, v2
	v_sub_u32_e32 v10, 0x3f1, v6
	v_or_b32_e32 v3, 0x1000, v2
	v_med3_i32 v10, v10, 0, 13
	v_lshrrev_b32_e32 v12, v10, v3
	v_lshlrev_b32_e32 v10, v10, v12
	v_cmp_ne_u32_e32 vcc, v10, v3
	v_add_u32_e32 v6, 0xfffffc10, v6
	v_lshl_or_b32 v10, v6, 12, v2
	v_cndmask_b32_e64 v3, 0, 1, vcc
	v_or_b32_e32 v3, v12, v3
	v_cmp_gt_i32_e32 vcc, 1, v6
	v_bitop3_b32 v1, v8, s6, v1 bitop3:0xc8
	s_nop 0
	v_cndmask_b32_e32 v3, v10, v3, vcc
	v_and_b32_e32 v10, 7, v3
	v_cmp_lt_i32_e32 vcc, 5, v10
	v_cmp_eq_u32_e64 s[0:1], 3, v10
	v_lshrrev_b32_e32 v3, 2, v3
	s_or_b64 vcc, s[0:1], vcc
	v_addc_co_u32_e32 v3, vcc, 0, v3, vcc
	v_cmp_gt_i32_e32 vcc, 31, v6
	v_lshrrev_b32_e32 v10, 16, v11
	v_mad_u64_u32 v[4:5], s[0:1], s4, v153, v[4:5]
	v_cndmask_b32_e32 v3, v18, v3, vcc
	v_cmp_ne_u32_e32 vcc, 0, v2
	v_add_u32_e32 v5, s11, v5
	s_nop 0
	v_cndmask_b32_e64 v2, 0, 1, vcc
	v_lshl_or_b32 v2, v2, 9, v18
	v_cmp_eq_u32_e32 vcc, s9, v6
	s_nop 1
	v_cndmask_b32_e32 v6, v3, v2, vcc
	ds_read2_b32 v[2:3], v158 offset0:84 offset1:133
	v_and_or_b32 v6, v10, s10, v6
	v_lshl_or_b32 v1, v6, 16, v1
	global_store_dword v[4:5], v1, off
	s_waitcnt lgkmcnt(0)
	v_lshrrev_b32_e32 v6, 16, v3
	v_mul_f16_sdwa v8, v181, v6 dst_sel:DWORD dst_unused:UNUSED_PAD src0_sel:WORD_1 src1_sel:DWORD
	v_fma_f16 v8, v181, v3, v8
	v_cvt_f32_f16_e32 v8, v8
	v_mul_f16_sdwa v3, v181, v3 dst_sel:DWORD dst_unused:UNUSED_PAD src0_sel:WORD_1 src1_sel:DWORD
	v_fma_f16 v3, v181, v6, -v3
	v_cvt_f32_f16_e32 v3, v3
	v_cvt_f64_f32_e32 v[10:11], v8
	v_mul_f64 v[10:11], v[10:11], s[2:3]
	v_and_or_b32 v1, v11, s7, v10
	v_cmp_ne_u32_e32 vcc, 0, v1
	v_lshrrev_b32_e32 v8, 8, v11
	v_bfe_u32 v10, v11, 20, 11
	v_cndmask_b32_e64 v1, 0, 1, vcc
	v_and_or_b32 v1, v8, s8, v1
	v_sub_u32_e32 v12, 0x3f1, v10
	v_or_b32_e32 v8, 0x1000, v1
	v_med3_i32 v12, v12, 0, 13
	v_lshrrev_b32_e32 v13, v12, v8
	v_lshlrev_b32_e32 v12, v12, v13
	v_cmp_ne_u32_e32 vcc, v12, v8
	v_add_u32_e32 v10, 0xfffffc10, v10
	v_lshl_or_b32 v12, v10, 12, v1
	v_cndmask_b32_e64 v8, 0, 1, vcc
	v_or_b32_e32 v8, v13, v8
	v_cmp_gt_i32_e32 vcc, 1, v10
	v_and_b32_sdwa v6, v11, s10 dst_sel:DWORD dst_unused:UNUSED_PAD src0_sel:WORD_1 src1_sel:DWORD
	s_nop 0
	v_cndmask_b32_e32 v8, v12, v8, vcc
	v_and_b32_e32 v12, 7, v8
	v_cmp_lt_i32_e32 vcc, 5, v12
	v_cmp_eq_u32_e64 s[0:1], 3, v12
	v_lshrrev_b32_e32 v8, 2, v8
	s_or_b64 vcc, s[0:1], vcc
	v_addc_co_u32_e32 v8, vcc, 0, v8, vcc
	v_cmp_gt_i32_e32 vcc, 31, v10
	s_nop 1
	v_cndmask_b32_e32 v8, v18, v8, vcc
	v_cmp_ne_u32_e32 vcc, 0, v1
	s_nop 1
	v_cndmask_b32_e64 v1, 0, 1, vcc
	v_cmp_eq_u32_e32 vcc, s9, v10
	v_cvt_f64_f32_e32 v[10:11], v3
	v_mul_f64 v[12:13], v[10:11], s[2:3]
	v_lshl_or_b32 v1, v1, 9, v18
	v_and_or_b32 v3, v13, s7, v12
	v_cndmask_b32_e32 v1, v8, v1, vcc
	v_cmp_ne_u32_e32 vcc, 0, v3
	v_lshrrev_b32_e32 v8, 8, v13
	v_bfe_u32 v10, v13, 20, 11
	v_cndmask_b32_e64 v3, 0, 1, vcc
	v_and_or_b32 v3, v8, s8, v3
	v_sub_u32_e32 v11, 0x3f1, v10
	v_or_b32_e32 v8, 0x1000, v3
	v_med3_i32 v11, v11, 0, 13
	v_lshrrev_b32_e32 v12, v11, v8
	v_lshlrev_b32_e32 v11, v11, v12
	v_cmp_ne_u32_e32 vcc, v11, v8
	v_add_u32_e32 v10, 0xfffffc10, v10
	v_lshl_or_b32 v11, v10, 12, v3
	v_cndmask_b32_e64 v8, 0, 1, vcc
	v_or_b32_e32 v8, v12, v8
	v_cmp_gt_i32_e32 vcc, 1, v10
	v_bitop3_b32 v1, v6, s6, v1 bitop3:0xc8
	s_nop 0
	v_cndmask_b32_e32 v8, v11, v8, vcc
	v_and_b32_e32 v11, 7, v8
	v_cmp_lt_i32_e32 vcc, 5, v11
	v_cmp_eq_u32_e64 s[0:1], 3, v11
	v_lshrrev_b32_e32 v8, 2, v8
	s_or_b64 vcc, s[0:1], vcc
	v_addc_co_u32_e32 v8, vcc, 0, v8, vcc
	v_cmp_gt_i32_e32 vcc, 31, v10
	s_nop 1
	v_cndmask_b32_e32 v8, v18, v8, vcc
	v_cmp_ne_u32_e32 vcc, 0, v3
	s_nop 1
	v_cndmask_b32_e64 v3, 0, 1, vcc
	v_cmp_eq_u32_e32 vcc, s9, v10
	ds_read2_b32 v[10:11], v163 offset0:92 offset1:141
	v_lshl_or_b32 v3, v3, 9, v18
	v_cndmask_b32_e32 v3, v8, v3, vcc
	v_lshrrev_b32_e32 v8, 16, v13
	v_and_or_b32 v3, v8, s10, v3
	v_lshl_or_b32 v1, v3, 16, v1
	s_waitcnt lgkmcnt(0)
	v_lshrrev_b32_e32 v3, 16, v10
	v_mul_f16_sdwa v6, v185, v3 dst_sel:DWORD dst_unused:UNUSED_PAD src0_sel:WORD_1 src1_sel:DWORD
	v_fma_f16 v6, v185, v10, v6
	v_cvt_f32_f16_e32 v6, v6
	v_mad_u64_u32 v[12:13], s[0:1], s4, v153, v[4:5]
	v_add_u32_e32 v13, s11, v13
	v_cvt_f64_f32_e32 v[4:5], v6
	v_mul_f64 v[4:5], v[4:5], s[2:3]
	global_store_dword v[12:13], v1, off
	v_and_or_b32 v1, v5, s7, v4
	v_cmp_ne_u32_e32 vcc, 0, v1
	v_lshrrev_b32_e32 v4, 8, v5
	v_bfe_u32 v6, v5, 20, 11
	v_cndmask_b32_e64 v1, 0, 1, vcc
	v_and_or_b32 v1, v4, s8, v1
	v_sub_u32_e32 v8, 0x3f1, v6
	v_or_b32_e32 v4, 0x1000, v1
	v_med3_i32 v8, v8, 0, 13
	v_lshrrev_b32_e32 v14, v8, v4
	v_lshlrev_b32_e32 v8, v8, v14
	v_cmp_ne_u32_e32 vcc, v8, v4
	v_add_u32_e32 v6, 0xfffffc10, v6
	v_lshl_or_b32 v8, v6, 12, v1
	v_cndmask_b32_e64 v4, 0, 1, vcc
	v_or_b32_e32 v4, v14, v4
	v_cmp_gt_i32_e32 vcc, 1, v6
	s_nop 1
	v_cndmask_b32_e32 v4, v8, v4, vcc
	v_and_b32_e32 v8, 7, v4
	v_cmp_lt_i32_e32 vcc, 5, v8
	v_cmp_eq_u32_e64 s[0:1], 3, v8
	v_lshrrev_b32_e32 v4, 2, v4
	s_or_b64 vcc, s[0:1], vcc
	v_mul_f16_sdwa v8, v185, v10 dst_sel:DWORD dst_unused:UNUSED_PAD src0_sel:WORD_1 src1_sel:DWORD
	v_addc_co_u32_e32 v4, vcc, 0, v4, vcc
	v_fma_f16 v3, v185, v3, -v8
	v_cmp_gt_i32_e32 vcc, 31, v6
	v_cvt_f32_f16_e32 v3, v3
	s_nop 0
	v_cndmask_b32_e32 v4, v18, v4, vcc
	v_cmp_ne_u32_e32 vcc, 0, v1
	s_nop 1
	v_cndmask_b32_e64 v1, 0, 1, vcc
	v_lshl_or_b32 v1, v1, 9, v18
	v_cmp_eq_u32_e32 vcc, s9, v6
	v_and_b32_sdwa v6, v5, s10 dst_sel:DWORD dst_unused:UNUSED_PAD src0_sel:WORD_1 src1_sel:DWORD
	s_nop 0
	v_cndmask_b32_e32 v1, v4, v1, vcc
	v_cvt_f64_f32_e32 v[4:5], v3
	v_mul_f64 v[14:15], v[4:5], s[2:3]
	v_and_or_b32 v3, v15, s7, v14
	v_cmp_ne_u32_e32 vcc, 0, v3
	v_lshrrev_b32_e32 v4, 8, v15
	v_bfe_u32 v5, v15, 20, 11
	v_cndmask_b32_e64 v3, 0, 1, vcc
	v_and_or_b32 v3, v4, s8, v3
	v_sub_u32_e32 v8, 0x3f1, v5
	v_or_b32_e32 v4, 0x1000, v3
	v_med3_i32 v8, v8, 0, 13
	v_lshrrev_b32_e32 v10, v8, v4
	v_lshlrev_b32_e32 v8, v8, v10
	v_cmp_ne_u32_e32 vcc, v8, v4
	v_add_u32_e32 v5, 0xfffffc10, v5
	v_lshl_or_b32 v8, v5, 12, v3
	v_cndmask_b32_e64 v4, 0, 1, vcc
	v_or_b32_e32 v4, v10, v4
	v_cmp_gt_i32_e32 vcc, 1, v5
	v_bitop3_b32 v1, v6, s6, v1 bitop3:0xc8
	s_nop 0
	v_cndmask_b32_e32 v4, v8, v4, vcc
	v_and_b32_e32 v8, 7, v4
	v_cmp_lt_i32_e32 vcc, 5, v8
	v_cmp_eq_u32_e64 s[0:1], 3, v8
	v_lshrrev_b32_e32 v4, 2, v4
	s_or_b64 vcc, s[0:1], vcc
	v_addc_co_u32_e32 v4, vcc, 0, v4, vcc
	v_cmp_gt_i32_e32 vcc, 31, v5
	v_lshrrev_b32_e32 v8, 16, v15
	v_mad_u64_u32 v[14:15], s[0:1], s4, v153, v[12:13]
	v_cndmask_b32_e32 v4, v18, v4, vcc
	v_cmp_ne_u32_e32 vcc, 0, v3
	v_add_u32_e32 v15, s11, v15
	s_nop 0
	v_cndmask_b32_e64 v3, 0, 1, vcc
	v_lshl_or_b32 v3, v3, 9, v18
	v_cmp_eq_u32_e32 vcc, s9, v5
	s_nop 1
	v_cndmask_b32_e32 v3, v4, v3, vcc
	ds_read2_b32 v[4:5], v165 offset0:130 offset1:179
	v_and_or_b32 v3, v8, s10, v3
	v_lshl_or_b32 v1, v3, 16, v1
	global_store_dword v[14:15], v1, off
	s_waitcnt lgkmcnt(0)
	v_lshrrev_b32_e32 v3, 16, v5
	v_mul_f16_sdwa v6, v167, v3 dst_sel:DWORD dst_unused:UNUSED_PAD src0_sel:WORD_1 src1_sel:DWORD
	v_fma_f16 v6, v167, v5, v6
	v_cvt_f32_f16_e32 v6, v6
	v_mul_f16_sdwa v5, v167, v5 dst_sel:DWORD dst_unused:UNUSED_PAD src0_sel:WORD_1 src1_sel:DWORD
	v_fma_f16 v3, v167, v3, -v5
	v_cvt_f32_f16_e32 v3, v3
	v_cvt_f64_f32_e32 v[12:13], v6
	v_mul_f64 v[12:13], v[12:13], s[2:3]
	v_and_or_b32 v1, v13, s7, v12
	v_cmp_ne_u32_e32 vcc, 0, v1
	v_lshrrev_b32_e32 v6, 8, v13
	v_bfe_u32 v8, v13, 20, 11
	v_cndmask_b32_e64 v1, 0, 1, vcc
	v_and_or_b32 v1, v6, s8, v1
	v_sub_u32_e32 v10, 0x3f1, v8
	v_or_b32_e32 v6, 0x1000, v1
	v_med3_i32 v10, v10, 0, 13
	v_lshrrev_b32_e32 v12, v10, v6
	v_lshlrev_b32_e32 v10, v10, v12
	v_cmp_ne_u32_e32 vcc, v10, v6
	v_add_u32_e32 v8, 0xfffffc10, v8
	v_lshl_or_b32 v10, v8, 12, v1
	v_cndmask_b32_e64 v6, 0, 1, vcc
	v_or_b32_e32 v6, v12, v6
	v_cmp_gt_i32_e32 vcc, 1, v8
	v_and_b32_sdwa v5, v13, s10 dst_sel:DWORD dst_unused:UNUSED_PAD src0_sel:WORD_1 src1_sel:DWORD
	v_cvt_f64_f32_e32 v[12:13], v3
	v_cndmask_b32_e32 v6, v10, v6, vcc
	v_and_b32_e32 v10, 7, v6
	v_cmp_lt_i32_e32 vcc, 5, v10
	v_cmp_eq_u32_e64 s[0:1], 3, v10
	v_lshrrev_b32_e32 v6, 2, v6
	s_or_b64 vcc, s[0:1], vcc
	v_addc_co_u32_e32 v6, vcc, 0, v6, vcc
	v_cmp_gt_i32_e32 vcc, 31, v8
	v_mul_f64 v[16:17], v[12:13], s[2:3]
	v_and_or_b32 v3, v17, s7, v16
	v_cndmask_b32_e32 v6, v18, v6, vcc
	v_cmp_ne_u32_e32 vcc, 0, v1
	s_nop 1
	v_cndmask_b32_e64 v1, 0, 1, vcc
	v_lshl_or_b32 v1, v1, 9, v18
	v_cmp_eq_u32_e32 vcc, s9, v8
	v_bfe_u32 v8, v17, 20, 11
	v_sub_u32_e32 v10, 0x3f1, v8
	v_cndmask_b32_e32 v1, v6, v1, vcc
	v_cmp_ne_u32_e32 vcc, 0, v3
	v_lshrrev_b32_e32 v6, 8, v17
	v_med3_i32 v10, v10, 0, 13
	v_cndmask_b32_e64 v3, 0, 1, vcc
	v_and_or_b32 v3, v6, s8, v3
	v_or_b32_e32 v6, 0x1000, v3
	v_lshrrev_b32_e32 v12, v10, v6
	v_lshlrev_b32_e32 v10, v10, v12
	v_cmp_ne_u32_e32 vcc, v10, v6
	v_add_u32_e32 v8, 0xfffffc10, v8
	v_lshl_or_b32 v10, v8, 12, v3
	v_cndmask_b32_e64 v6, 0, 1, vcc
	v_or_b32_e32 v6, v12, v6
	v_cmp_gt_i32_e32 vcc, 1, v8
	ds_read2_b32 v[12:13], v209 offset0:10 offset1:59
	v_bitop3_b32 v1, v5, s6, v1 bitop3:0xc8
	v_cndmask_b32_e32 v6, v10, v6, vcc
	v_and_b32_e32 v10, 7, v6
	v_cmp_lt_i32_e32 vcc, 5, v10
	v_cmp_eq_u32_e64 s[0:1], 3, v10
	v_lshrrev_b32_e32 v6, 2, v6
	s_or_b64 vcc, s[0:1], vcc
	v_addc_co_u32_e32 v6, vcc, 0, v6, vcc
	v_cmp_gt_i32_e32 vcc, 31, v8
	v_mad_u64_u32 v[14:15], s[0:1], s4, v153, v[14:15]
	s_nop 0
	v_cndmask_b32_e32 v6, v18, v6, vcc
	v_cmp_ne_u32_e32 vcc, 0, v3
	v_add_u32_e32 v15, s11, v15
	s_nop 0
	v_cndmask_b32_e64 v3, 0, 1, vcc
	v_lshl_or_b32 v3, v3, 9, v18
	v_cmp_eq_u32_e32 vcc, s9, v8
	s_nop 1
	v_cndmask_b32_e32 v3, v6, v3, vcc
	v_lshrrev_b32_e32 v6, 16, v17
	v_and_or_b32 v3, v6, s10, v3
	v_lshl_or_b32 v1, v3, 16, v1
	s_waitcnt lgkmcnt(0)
	v_lshrrev_b32_e32 v3, 16, v12
	v_mul_f16_sdwa v5, v225, v3 dst_sel:DWORD dst_unused:UNUSED_PAD src0_sel:WORD_1 src1_sel:DWORD
	v_fma_f16 v5, v225, v12, v5
	v_cvt_f32_f16_e32 v5, v5
	global_store_dword v[14:15], v1, off
	v_cvt_f64_f32_e32 v[16:17], v5
	v_mul_f64 v[16:17], v[16:17], s[2:3]
	v_and_or_b32 v1, v17, s7, v16
	v_cmp_ne_u32_e32 vcc, 0, v1
	v_lshrrev_b32_e32 v5, 8, v17
	v_bfe_u32 v6, v17, 20, 11
	v_cndmask_b32_e64 v1, 0, 1, vcc
	v_and_or_b32 v1, v5, s8, v1
	v_sub_u32_e32 v8, 0x3f1, v6
	v_or_b32_e32 v5, 0x1000, v1
	v_med3_i32 v8, v8, 0, 13
	v_lshrrev_b32_e32 v10, v8, v5
	v_lshlrev_b32_e32 v8, v8, v10
	v_cmp_ne_u32_e32 vcc, v8, v5
	v_add_u32_e32 v6, 0xfffffc10, v6
	v_lshl_or_b32 v8, v6, 12, v1
	v_cndmask_b32_e64 v5, 0, 1, vcc
	v_or_b32_e32 v5, v10, v5
	v_cmp_gt_i32_e32 vcc, 1, v6
	s_nop 1
	v_cndmask_b32_e32 v5, v8, v5, vcc
	v_and_b32_e32 v8, 7, v5
	v_cmp_lt_i32_e32 vcc, 5, v8
	v_cmp_eq_u32_e64 s[0:1], 3, v8
	v_lshrrev_b32_e32 v5, 2, v5
	s_or_b64 vcc, s[0:1], vcc
	v_mul_f16_sdwa v8, v225, v12 dst_sel:DWORD dst_unused:UNUSED_PAD src0_sel:WORD_1 src1_sel:DWORD
	v_addc_co_u32_e32 v5, vcc, 0, v5, vcc
	v_fma_f16 v3, v225, v3, -v8
	v_cmp_gt_i32_e32 vcc, 31, v6
	v_cvt_f32_f16_e32 v3, v3
	s_nop 0
	v_cndmask_b32_e32 v5, v18, v5, vcc
	v_cmp_ne_u32_e32 vcc, 0, v1
	s_nop 1
	v_cndmask_b32_e64 v1, 0, 1, vcc
	v_lshl_or_b32 v1, v1, 9, v18
	v_cmp_eq_u32_e32 vcc, s9, v6
	s_nop 1
	v_cndmask_b32_e32 v1, v5, v1, vcc
	v_and_b32_sdwa v5, v17, s10 dst_sel:DWORD dst_unused:UNUSED_PAD src0_sel:WORD_1 src1_sel:DWORD
	v_cvt_f64_f32_e32 v[16:17], v3
	v_mul_f64 v[16:17], v[16:17], s[2:3]
	v_and_or_b32 v3, v17, s7, v16
	v_cmp_ne_u32_e32 vcc, 0, v3
	v_lshrrev_b32_e32 v6, 8, v17
	v_bfe_u32 v8, v17, 20, 11
	v_cndmask_b32_e64 v3, 0, 1, vcc
	v_and_or_b32 v3, v6, s8, v3
	v_sub_u32_e32 v10, 0x3f1, v8
	v_or_b32_e32 v6, 0x1000, v3
	v_med3_i32 v10, v10, 0, 13
	v_lshrrev_b32_e32 v12, v10, v6
	v_lshlrev_b32_e32 v10, v10, v12
	v_cmp_ne_u32_e32 vcc, v10, v6
	v_add_u32_e32 v8, 0xfffffc10, v8
	v_lshl_or_b32 v10, v8, 12, v3
	v_cndmask_b32_e64 v6, 0, 1, vcc
	v_or_b32_e32 v6, v12, v6
	v_cmp_gt_i32_e32 vcc, 1, v8
	v_bitop3_b32 v1, v5, s6, v1 bitop3:0xc8
	s_nop 0
	v_cndmask_b32_e32 v6, v10, v6, vcc
	v_and_b32_e32 v10, 7, v6
	v_cmp_lt_i32_e32 vcc, 5, v10
	v_cmp_eq_u32_e64 s[0:1], 3, v10
	v_lshrrev_b32_e32 v6, 2, v6
	s_or_b64 vcc, s[0:1], vcc
	v_addc_co_u32_e32 v6, vcc, 0, v6, vcc
	v_cmp_gt_i32_e32 vcc, 31, v8
	v_mad_u64_u32 v[14:15], s[0:1], s4, v153, v[14:15]
	s_nop 0
	v_cndmask_b32_e32 v6, v18, v6, vcc
	v_cmp_ne_u32_e32 vcc, 0, v3
	v_add_u32_e32 v15, s11, v15
	s_nop 0
	v_cndmask_b32_e64 v3, 0, 1, vcc
	v_lshl_or_b32 v3, v3, 9, v18
	v_cmp_eq_u32_e32 vcc, s9, v8
	s_nop 1
	v_cndmask_b32_e32 v3, v6, v3, vcc
	v_lshrrev_b32_e32 v6, 16, v17
	v_and_or_b32 v3, v6, s10, v3
	v_lshl_or_b32 v1, v3, 16, v1
	v_lshrrev_b32_e32 v3, 16, v7
	v_mul_f16_sdwa v5, v189, v3 dst_sel:DWORD dst_unused:UNUSED_PAD src0_sel:WORD_1 src1_sel:DWORD
	v_fma_f16 v5, v189, v7, v5
	v_cvt_f32_f16_e32 v5, v5
	global_store_dword v[14:15], v1, off
	v_mul_f16_sdwa v7, v189, v7 dst_sel:DWORD dst_unused:UNUSED_PAD src0_sel:WORD_1 src1_sel:DWORD
	v_fma_f16 v3, v189, v3, -v7
	v_cvt_f64_f32_e32 v[16:17], v5
	v_mul_f64 v[16:17], v[16:17], s[2:3]
	v_and_or_b32 v1, v17, s7, v16
	v_cmp_ne_u32_e32 vcc, 0, v1
	v_lshrrev_b32_e32 v5, 8, v17
	v_bfe_u32 v6, v17, 20, 11
	v_cndmask_b32_e64 v1, 0, 1, vcc
	v_and_or_b32 v1, v5, s8, v1
	v_sub_u32_e32 v8, 0x3f1, v6
	v_or_b32_e32 v5, 0x1000, v1
	v_med3_i32 v8, v8, 0, 13
	v_lshrrev_b32_e32 v10, v8, v5
	v_lshlrev_b32_e32 v8, v8, v10
	v_cmp_ne_u32_e32 vcc, v8, v5
	v_add_u32_e32 v6, 0xfffffc10, v6
	v_lshl_or_b32 v8, v6, 12, v1
	v_cndmask_b32_e64 v5, 0, 1, vcc
	v_or_b32_e32 v5, v10, v5
	v_cmp_gt_i32_e32 vcc, 1, v6
	v_cvt_f32_f16_e32 v3, v3
	s_nop 0
	v_cndmask_b32_e32 v5, v8, v5, vcc
	v_and_b32_e32 v8, 7, v5
	v_cmp_lt_i32_e32 vcc, 5, v8
	v_cmp_eq_u32_e64 s[0:1], 3, v8
	v_lshrrev_b32_e32 v5, 2, v5
	s_or_b64 vcc, s[0:1], vcc
	v_addc_co_u32_e32 v5, vcc, 0, v5, vcc
	v_cmp_gt_i32_e32 vcc, 31, v6
	s_nop 1
	v_cndmask_b32_e32 v5, v18, v5, vcc
	v_cmp_ne_u32_e32 vcc, 0, v1
	s_nop 1
	v_cndmask_b32_e64 v1, 0, 1, vcc
	v_cmp_eq_u32_e32 vcc, s9, v6
	v_cvt_f64_f32_e32 v[6:7], v3
	v_mul_f64 v[6:7], v[6:7], s[2:3]
	v_lshl_or_b32 v1, v1, 9, v18
	v_and_or_b32 v3, v7, s7, v6
	v_cndmask_b32_e32 v1, v5, v1, vcc
	v_cmp_ne_u32_e32 vcc, 0, v3
	v_lshrrev_b32_e32 v6, 8, v7
	v_bfe_u32 v8, v7, 20, 11
	v_cndmask_b32_e64 v3, 0, 1, vcc
	v_and_or_b32 v3, v6, s8, v3
	v_sub_u32_e32 v10, 0x3f1, v8
	v_or_b32_e32 v6, 0x1000, v3
	v_med3_i32 v10, v10, 0, 13
	v_lshrrev_b32_e32 v12, v10, v6
	v_lshlrev_b32_e32 v10, v10, v12
	v_cmp_ne_u32_e32 vcc, v10, v6
	v_add_u32_e32 v8, 0xfffffc10, v8
	v_lshl_or_b32 v10, v8, 12, v3
	v_cndmask_b32_e64 v6, 0, 1, vcc
	v_or_b32_e32 v6, v12, v6
	v_cmp_gt_i32_e32 vcc, 1, v8
	v_and_b32_sdwa v5, v17, s10 dst_sel:DWORD dst_unused:UNUSED_PAD src0_sel:WORD_1 src1_sel:DWORD
	ds_read2_b32 v[16:17], v159 offset0:136 offset1:185
	v_cndmask_b32_e32 v6, v10, v6, vcc
	v_and_b32_e32 v10, 7, v6
	v_cmp_lt_i32_e32 vcc, 5, v10
	v_cmp_eq_u32_e64 s[0:1], 3, v10
	v_lshrrev_b32_e32 v6, 2, v6
	s_or_b64 vcc, s[0:1], vcc
	v_addc_co_u32_e32 v6, vcc, 0, v6, vcc
	v_cmp_gt_i32_e32 vcc, 31, v8
	v_bitop3_b32 v1, v5, s6, v1 bitop3:0xc8
	s_nop 0
	v_cndmask_b32_e32 v6, v18, v6, vcc
	v_cmp_ne_u32_e32 vcc, 0, v3
	s_nop 1
	v_cndmask_b32_e64 v3, 0, 1, vcc
	v_lshl_or_b32 v3, v3, 9, v18
	v_cmp_eq_u32_e32 vcc, s9, v8
	s_nop 1
	v_cndmask_b32_e32 v3, v6, v3, vcc
	v_lshrrev_b32_e32 v6, 16, v7
	v_and_or_b32 v3, v6, s10, v3
	v_lshl_or_b32 v1, v3, 16, v1
	s_waitcnt lgkmcnt(0)
	v_lshrrev_b32_e32 v3, 16, v16
	v_mul_f16_sdwa v5, v183, v3 dst_sel:DWORD dst_unused:UNUSED_PAD src0_sel:WORD_1 src1_sel:DWORD
	v_fma_f16 v5, v183, v16, v5
	v_cvt_f32_f16_e32 v5, v5
	v_mad_u64_u32 v[6:7], s[0:1], s4, v19, v[14:15]
	s_mul_i32 s0, s5, 0xffffe09c
	s_sub_i32 s5, s0, s4
	v_cvt_f64_f32_e32 v[14:15], v5
	v_add_u32_e32 v7, s5, v7
	v_mul_f64 v[14:15], v[14:15], s[2:3]
	global_store_dword v[6:7], v1, off
	v_and_or_b32 v1, v15, s7, v14
	v_cmp_ne_u32_e32 vcc, 0, v1
	v_lshrrev_b32_e32 v5, 8, v15
	v_bfe_u32 v8, v15, 20, 11
	v_cndmask_b32_e64 v1, 0, 1, vcc
	v_and_or_b32 v1, v5, s8, v1
	v_sub_u32_e32 v10, 0x3f1, v8
	v_or_b32_e32 v5, 0x1000, v1
	v_med3_i32 v10, v10, 0, 13
	v_lshrrev_b32_e32 v12, v10, v5
	v_lshlrev_b32_e32 v10, v10, v12
	v_cmp_ne_u32_e32 vcc, v10, v5
	v_add_u32_e32 v8, 0xfffffc10, v8
	v_lshl_or_b32 v10, v8, 12, v1
	v_cndmask_b32_e64 v5, 0, 1, vcc
	v_or_b32_e32 v5, v12, v5
	v_cmp_gt_i32_e32 vcc, 1, v8
	s_nop 1
	v_cndmask_b32_e32 v5, v10, v5, vcc
	v_and_b32_e32 v10, 7, v5
	v_cmp_lt_i32_e32 vcc, 5, v10
	v_cmp_eq_u32_e64 s[0:1], 3, v10
	v_lshrrev_b32_e32 v5, 2, v5
	s_or_b64 vcc, s[0:1], vcc
	v_mul_f16_sdwa v10, v183, v16 dst_sel:DWORD dst_unused:UNUSED_PAD src0_sel:WORD_1 src1_sel:DWORD
	v_addc_co_u32_e32 v5, vcc, 0, v5, vcc
	v_fma_f16 v3, v183, v3, -v10
	v_cmp_gt_i32_e32 vcc, 31, v8
	v_cvt_f32_f16_e32 v3, v3
	v_accvgpr_read_b32 v16, a33
	v_cndmask_b32_e32 v5, v18, v5, vcc
	v_cmp_ne_u32_e32 vcc, 0, v1
	s_nop 1
	v_cndmask_b32_e64 v1, 0, 1, vcc
	v_lshl_or_b32 v1, v1, 9, v18
	v_cmp_eq_u32_e32 vcc, s9, v8
	s_nop 1
	v_cndmask_b32_e32 v1, v5, v1, vcc
	v_and_b32_sdwa v5, v15, s10 dst_sel:DWORD dst_unused:UNUSED_PAD src0_sel:WORD_1 src1_sel:DWORD
	v_cvt_f64_f32_e32 v[14:15], v3
	v_mul_f64 v[14:15], v[14:15], s[2:3]
	v_and_or_b32 v3, v15, s7, v14
	v_cmp_ne_u32_e32 vcc, 0, v3
	v_lshrrev_b32_e32 v8, 8, v15
	v_bfe_u32 v10, v15, 20, 11
	v_cndmask_b32_e64 v3, 0, 1, vcc
	v_and_or_b32 v3, v8, s8, v3
	v_sub_u32_e32 v12, 0x3f1, v10
	v_or_b32_e32 v8, 0x1000, v3
	v_med3_i32 v12, v12, 0, 13
	v_lshrrev_b32_e32 v14, v12, v8
	v_lshlrev_b32_e32 v12, v12, v14
	v_cmp_ne_u32_e32 vcc, v12, v8
	v_add_u32_e32 v10, 0xfffffc10, v10
	v_lshl_or_b32 v12, v10, 12, v3
	v_cndmask_b32_e64 v8, 0, 1, vcc
	v_or_b32_e32 v8, v14, v8
	v_cmp_gt_i32_e32 vcc, 1, v10
	v_bitop3_b32 v1, v5, s6, v1 bitop3:0xc8
	s_nop 0
	v_cndmask_b32_e32 v8, v12, v8, vcc
	v_and_b32_e32 v12, 7, v8
	v_cmp_lt_i32_e32 vcc, 5, v12
	v_cmp_eq_u32_e64 s[0:1], 3, v12
	v_lshrrev_b32_e32 v8, 2, v8
	s_or_b64 vcc, s[0:1], vcc
	v_addc_co_u32_e32 v8, vcc, 0, v8, vcc
	v_cmp_gt_i32_e32 vcc, 31, v10
	v_mad_u64_u32 v[6:7], s[0:1], s4, v153, v[6:7]
	s_nop 0
	v_cndmask_b32_e32 v8, v18, v8, vcc
	v_cmp_ne_u32_e32 vcc, 0, v3
	v_add_u32_e32 v7, s11, v7
	s_nop 0
	v_cndmask_b32_e64 v3, 0, 1, vcc
	v_lshl_or_b32 v3, v3, 9, v18
	v_cmp_eq_u32_e32 vcc, s9, v10
	s_nop 1
	v_cndmask_b32_e32 v3, v8, v3, vcc
	v_lshrrev_b32_e32 v8, 16, v15
	v_and_or_b32 v3, v8, s10, v3
	v_lshl_or_b32 v1, v3, 16, v1
	v_lshrrev_b32_e32 v3, 16, v9
	v_accvgpr_read_b32 v8, a33
	v_mul_f16_sdwa v5, v8, v3 dst_sel:DWORD dst_unused:UNUSED_PAD src0_sel:WORD_1 src1_sel:DWORD
	v_fma_f16 v5, v8, v9, v5
	v_cvt_f32_f16_e32 v5, v5
	global_store_dword v[6:7], v1, off
	v_mul_f16_sdwa v9, v16, v9 dst_sel:DWORD dst_unused:UNUSED_PAD src0_sel:WORD_1 src1_sel:DWORD
	v_fma_f16 v3, v16, v3, -v9
	v_cvt_f64_f32_e32 v[14:15], v5
	v_mul_f64 v[14:15], v[14:15], s[2:3]
	v_and_or_b32 v1, v15, s7, v14
	v_cmp_ne_u32_e32 vcc, 0, v1
	v_lshrrev_b32_e32 v5, 8, v15
	v_bfe_u32 v8, v15, 20, 11
	v_cndmask_b32_e64 v1, 0, 1, vcc
	v_and_or_b32 v1, v5, s8, v1
	v_sub_u32_e32 v10, 0x3f1, v8
	v_or_b32_e32 v5, 0x1000, v1
	v_med3_i32 v10, v10, 0, 13
	v_lshrrev_b32_e32 v12, v10, v5
	v_lshlrev_b32_e32 v10, v10, v12
	v_cmp_ne_u32_e32 vcc, v10, v5
	v_add_u32_e32 v8, 0xfffffc10, v8
	v_lshl_or_b32 v10, v8, 12, v1
	v_cndmask_b32_e64 v5, 0, 1, vcc
	v_or_b32_e32 v5, v12, v5
	v_cmp_gt_i32_e32 vcc, 1, v8
	v_cvt_f32_f16_e32 v3, v3
	v_accvgpr_read_b32 v16, a32
	v_cndmask_b32_e32 v5, v10, v5, vcc
	v_and_b32_e32 v10, 7, v5
	v_cmp_lt_i32_e32 vcc, 5, v10
	v_cmp_eq_u32_e64 s[0:1], 3, v10
	v_lshrrev_b32_e32 v5, 2, v5
	s_or_b64 vcc, s[0:1], vcc
	v_addc_co_u32_e32 v5, vcc, 0, v5, vcc
	v_cmp_gt_i32_e32 vcc, 31, v8
	s_nop 1
	v_cndmask_b32_e32 v5, v18, v5, vcc
	v_cmp_ne_u32_e32 vcc, 0, v1
	s_nop 1
	v_cndmask_b32_e64 v1, 0, 1, vcc
	v_lshl_or_b32 v1, v1, 9, v18
	v_cmp_eq_u32_e32 vcc, s9, v8
	v_cvt_f64_f32_e32 v[8:9], v3
	s_nop 0
	v_cndmask_b32_e32 v1, v5, v1, vcc
	v_and_b32_sdwa v5, v15, s10 dst_sel:DWORD dst_unused:UNUSED_PAD src0_sel:WORD_1 src1_sel:DWORD
	v_mul_f64 v[14:15], v[8:9], s[2:3]
	v_and_or_b32 v3, v15, s7, v14
	v_cmp_ne_u32_e32 vcc, 0, v3
	v_lshrrev_b32_e32 v8, 8, v15
	v_bfe_u32 v9, v15, 20, 11
	v_cndmask_b32_e64 v3, 0, 1, vcc
	v_and_or_b32 v3, v8, s8, v3
	v_sub_u32_e32 v10, 0x3f1, v9
	v_or_b32_e32 v8, 0x1000, v3
	v_med3_i32 v10, v10, 0, 13
	v_lshrrev_b32_e32 v12, v10, v8
	v_lshlrev_b32_e32 v10, v10, v12
	v_cmp_ne_u32_e32 vcc, v10, v8
	v_add_u32_e32 v9, 0xfffffc10, v9
	v_lshl_or_b32 v10, v9, 12, v3
	v_cndmask_b32_e64 v8, 0, 1, vcc
	v_or_b32_e32 v8, v12, v8
	v_cmp_gt_i32_e32 vcc, 1, v9
	v_bitop3_b32 v1, v5, s6, v1 bitop3:0xc8
	s_nop 0
	v_cndmask_b32_e32 v8, v10, v8, vcc
	v_and_b32_e32 v10, 7, v8
	v_cmp_lt_i32_e32 vcc, 5, v10
	v_cmp_eq_u32_e64 s[0:1], 3, v10
	v_lshrrev_b32_e32 v8, 2, v8
	s_or_b64 vcc, s[0:1], vcc
	v_addc_co_u32_e32 v8, vcc, 0, v8, vcc
	v_cmp_gt_i32_e32 vcc, 31, v9
	v_lshrrev_b32_e32 v10, 16, v15
	v_mad_u64_u32 v[6:7], s[0:1], s4, v153, v[6:7]
	v_cndmask_b32_e32 v8, v18, v8, vcc
	v_cmp_ne_u32_e32 vcc, 0, v3
	v_add_u32_e32 v7, s11, v7
	s_nop 0
	v_cndmask_b32_e64 v3, 0, 1, vcc
	v_lshl_or_b32 v3, v3, 9, v18
	v_cmp_eq_u32_e32 vcc, s9, v9
	s_nop 1
	v_cndmask_b32_e32 v3, v8, v3, vcc
	ds_read2_b32 v[8:9], v175 offset0:54 offset1:103
	v_and_or_b32 v3, v10, s10, v3
	v_lshl_or_b32 v1, v3, 16, v1
	global_store_dword v[6:7], v1, off
	s_waitcnt lgkmcnt(0)
	v_lshrrev_b32_e32 v3, 16, v8
	v_mul_f16_sdwa v5, v199, v3 dst_sel:DWORD dst_unused:UNUSED_PAD src0_sel:WORD_1 src1_sel:DWORD
	v_fma_f16 v5, v199, v8, v5
	v_cvt_f32_f16_e32 v5, v5
	v_mul_f16_sdwa v8, v199, v8 dst_sel:DWORD dst_unused:UNUSED_PAD src0_sel:WORD_1 src1_sel:DWORD
	v_fma_f16 v3, v199, v3, -v8
	v_cvt_f32_f16_e32 v3, v3
	v_cvt_f64_f32_e32 v[14:15], v5
	v_mul_f64 v[14:15], v[14:15], s[2:3]
	v_and_or_b32 v1, v15, s7, v14
	v_cmp_ne_u32_e32 vcc, 0, v1
	v_lshrrev_b32_e32 v5, 8, v15
	v_bfe_u32 v10, v15, 20, 11
	v_cndmask_b32_e64 v1, 0, 1, vcc
	v_and_or_b32 v1, v5, s8, v1
	v_sub_u32_e32 v12, 0x3f1, v10
	v_or_b32_e32 v5, 0x1000, v1
	v_med3_i32 v12, v12, 0, 13
	v_lshrrev_b32_e32 v14, v12, v5
	v_lshlrev_b32_e32 v12, v12, v14
	v_cmp_ne_u32_e32 vcc, v12, v5
	v_add_u32_e32 v10, 0xfffffc10, v10
	v_lshl_or_b32 v12, v10, 12, v1
	v_cndmask_b32_e64 v5, 0, 1, vcc
	v_or_b32_e32 v5, v14, v5
	v_cmp_gt_i32_e32 vcc, 1, v10
	s_nop 1
	v_cndmask_b32_e32 v5, v12, v5, vcc
	v_and_b32_e32 v12, 7, v5
	v_cmp_lt_i32_e32 vcc, 5, v12
	v_cmp_eq_u32_e64 s[0:1], 3, v12
	v_lshrrev_b32_e32 v5, 2, v5
	s_or_b64 vcc, s[0:1], vcc
	v_addc_co_u32_e32 v5, vcc, 0, v5, vcc
	v_cmp_gt_i32_e32 vcc, 31, v10
	s_nop 1
	v_cndmask_b32_e32 v5, v18, v5, vcc
	v_cmp_ne_u32_e32 vcc, 0, v1
	s_nop 1
	v_cndmask_b32_e64 v1, 0, 1, vcc
	v_lshl_or_b32 v1, v1, 9, v18
	v_cmp_eq_u32_e32 vcc, s9, v10
	s_nop 1
	v_cndmask_b32_e32 v1, v5, v1, vcc
	v_and_b32_sdwa v5, v15, s10 dst_sel:DWORD dst_unused:UNUSED_PAD src0_sel:WORD_1 src1_sel:DWORD
	v_cvt_f64_f32_e32 v[14:15], v3
	v_mul_f64 v[14:15], v[14:15], s[2:3]
	v_and_or_b32 v3, v15, s7, v14
	v_cmp_ne_u32_e32 vcc, 0, v3
	v_lshrrev_b32_e32 v8, 8, v15
	v_bfe_u32 v10, v15, 20, 11
	v_cndmask_b32_e64 v3, 0, 1, vcc
	v_and_or_b32 v3, v8, s8, v3
	v_sub_u32_e32 v12, 0x3f1, v10
	v_or_b32_e32 v8, 0x1000, v3
	v_med3_i32 v12, v12, 0, 13
	v_lshrrev_b32_e32 v14, v12, v8
	v_lshlrev_b32_e32 v12, v12, v14
	v_cmp_ne_u32_e32 vcc, v12, v8
	v_add_u32_e32 v10, 0xfffffc10, v10
	v_lshl_or_b32 v12, v10, 12, v3
	v_cndmask_b32_e64 v8, 0, 1, vcc
	v_or_b32_e32 v8, v14, v8
	v_cmp_gt_i32_e32 vcc, 1, v10
	v_bitop3_b32 v1, v5, s6, v1 bitop3:0xc8
	s_nop 0
	v_cndmask_b32_e32 v8, v12, v8, vcc
	v_and_b32_e32 v12, 7, v8
	v_cmp_lt_i32_e32 vcc, 5, v12
	v_cmp_eq_u32_e64 s[0:1], 3, v12
	v_lshrrev_b32_e32 v8, 2, v8
	s_or_b64 vcc, s[0:1], vcc
	v_addc_co_u32_e32 v8, vcc, 0, v8, vcc
	v_cmp_gt_i32_e32 vcc, 31, v10
	v_mad_u64_u32 v[6:7], s[0:1], s4, v153, v[6:7]
	s_nop 0
	v_cndmask_b32_e32 v8, v18, v8, vcc
	v_cmp_ne_u32_e32 vcc, 0, v3
	v_add_u32_e32 v7, s11, v7
	s_nop 0
	v_cndmask_b32_e64 v3, 0, 1, vcc
	v_lshl_or_b32 v3, v3, 9, v18
	v_cmp_eq_u32_e32 vcc, s9, v10
	s_nop 1
	v_cndmask_b32_e32 v3, v8, v3, vcc
	v_lshrrev_b32_e32 v8, 16, v15
	v_and_or_b32 v3, v8, s10, v3
	v_lshl_or_b32 v1, v3, 16, v1
	v_lshrrev_b32_e32 v3, 16, v11
	v_mul_f16_sdwa v5, v197, v3 dst_sel:DWORD dst_unused:UNUSED_PAD src0_sel:WORD_1 src1_sel:DWORD
	v_fma_f16 v5, v197, v11, v5
	v_cvt_f32_f16_e32 v5, v5
	global_store_dword v[6:7], v1, off
	v_cvt_f64_f32_e32 v[14:15], v5
	v_mul_f64 v[14:15], v[14:15], s[2:3]
	v_and_or_b32 v1, v15, s7, v14
	v_cmp_ne_u32_e32 vcc, 0, v1
	v_lshrrev_b32_e32 v5, 8, v15
	v_bfe_u32 v8, v15, 20, 11
	v_cndmask_b32_e64 v1, 0, 1, vcc
	v_and_or_b32 v1, v5, s8, v1
	v_sub_u32_e32 v10, 0x3f1, v8
	v_or_b32_e32 v5, 0x1000, v1
	v_med3_i32 v10, v10, 0, 13
	v_lshrrev_b32_e32 v12, v10, v5
	v_lshlrev_b32_e32 v10, v10, v12
	v_cmp_ne_u32_e32 vcc, v10, v5
	v_add_u32_e32 v8, 0xfffffc10, v8
	v_lshl_or_b32 v10, v8, 12, v1
	v_cndmask_b32_e64 v5, 0, 1, vcc
	v_or_b32_e32 v5, v12, v5
	v_cmp_gt_i32_e32 vcc, 1, v8
	s_nop 1
	v_cndmask_b32_e32 v5, v10, v5, vcc
	v_and_b32_e32 v10, 7, v5
	v_cmp_lt_i32_e32 vcc, 5, v10
	v_cmp_eq_u32_e64 s[0:1], 3, v10
	v_mul_f16_sdwa v10, v197, v11 dst_sel:DWORD dst_unused:UNUSED_PAD src0_sel:WORD_1 src1_sel:DWORD
	v_fma_f16 v3, v197, v3, -v10
	v_cvt_f32_f16_e32 v3, v3
	v_lshrrev_b32_e32 v5, 2, v5
	s_or_b64 vcc, s[0:1], vcc
	v_addc_co_u32_e32 v5, vcc, 0, v5, vcc
	v_cmp_gt_i32_e32 vcc, 31, v8
	v_cvt_f64_f32_e32 v[10:11], v3
	v_mul_f64 v[10:11], v[10:11], s[2:3]
	v_cndmask_b32_e32 v5, v18, v5, vcc
	v_cmp_ne_u32_e32 vcc, 0, v1
	v_and_or_b32 v3, v11, s7, v10
	v_bfe_u32 v10, v11, 20, 11
	v_cndmask_b32_e64 v1, 0, 1, vcc
	v_lshl_or_b32 v1, v1, 9, v18
	v_cmp_eq_u32_e32 vcc, s9, v8
	v_lshrrev_b32_e32 v8, 8, v11
	v_sub_u32_e32 v12, 0x3f1, v10
	v_cndmask_b32_e32 v1, v5, v1, vcc
	v_cmp_ne_u32_e32 vcc, 0, v3
	v_med3_i32 v12, v12, 0, 13
	v_add_u32_e32 v10, 0xfffffc10, v10
	v_cndmask_b32_e64 v3, 0, 1, vcc
	v_and_or_b32 v3, v8, s8, v3
	v_or_b32_e32 v8, 0x1000, v3
	v_lshrrev_b32_e32 v14, v12, v8
	v_lshlrev_b32_e32 v12, v12, v14
	v_cmp_ne_u32_e32 vcc, v12, v8
	v_lshl_or_b32 v12, v10, 12, v3
	v_and_b32_sdwa v5, v15, s10 dst_sel:DWORD dst_unused:UNUSED_PAD src0_sel:WORD_1 src1_sel:DWORD
	v_cndmask_b32_e64 v8, 0, 1, vcc
	v_or_b32_e32 v8, v14, v8
	v_cmp_gt_i32_e32 vcc, 1, v10
	ds_read2_b32 v[14:15], v53 offset0:100 offset1:149
	v_bitop3_b32 v1, v5, s6, v1 bitop3:0xc8
	v_cndmask_b32_e32 v8, v12, v8, vcc
	v_and_b32_e32 v12, 7, v8
	v_cmp_lt_i32_e32 vcc, 5, v12
	v_cmp_eq_u32_e64 s[0:1], 3, v12
	v_lshrrev_b32_e32 v8, 2, v8
	s_or_b64 vcc, s[0:1], vcc
	v_addc_co_u32_e32 v8, vcc, 0, v8, vcc
	v_cmp_gt_i32_e32 vcc, 31, v10
	v_mad_u64_u32 v[6:7], s[0:1], s4, v153, v[6:7]
	s_nop 0
	v_cndmask_b32_e32 v8, v18, v8, vcc
	v_cmp_ne_u32_e32 vcc, 0, v3
	v_add_u32_e32 v7, s11, v7
	s_nop 0
	v_cndmask_b32_e64 v3, 0, 1, vcc
	v_lshl_or_b32 v3, v3, 9, v18
	v_cmp_eq_u32_e32 vcc, s9, v10
	s_nop 1
	v_cndmask_b32_e32 v3, v8, v3, vcc
	v_lshrrev_b32_e32 v8, 16, v11
	v_and_or_b32 v3, v8, s10, v3
	v_lshl_or_b32 v1, v3, 16, v1
	s_waitcnt lgkmcnt(0)
	v_lshrrev_b32_e32 v3, 16, v14
	v_mul_f16_sdwa v5, v195, v3 dst_sel:DWORD dst_unused:UNUSED_PAD src0_sel:WORD_1 src1_sel:DWORD
	v_fma_f16 v5, v195, v14, v5
	v_cvt_f32_f16_e32 v5, v5
	global_store_dword v[6:7], v1, off
	v_cvt_f64_f32_e32 v[10:11], v5
	v_mul_f64 v[10:11], v[10:11], s[2:3]
	v_and_or_b32 v1, v11, s7, v10
	v_cmp_ne_u32_e32 vcc, 0, v1
	v_lshrrev_b32_e32 v5, 8, v11
	v_bfe_u32 v8, v11, 20, 11
	v_cndmask_b32_e64 v1, 0, 1, vcc
	v_and_or_b32 v1, v5, s8, v1
	v_sub_u32_e32 v10, 0x3f1, v8
	v_or_b32_e32 v5, 0x1000, v1
	v_med3_i32 v10, v10, 0, 13
	v_lshrrev_b32_e32 v12, v10, v5
	v_lshlrev_b32_e32 v10, v10, v12
	v_cmp_ne_u32_e32 vcc, v10, v5
	v_add_u32_e32 v8, 0xfffffc10, v8
	v_lshl_or_b32 v10, v8, 12, v1
	v_cndmask_b32_e64 v5, 0, 1, vcc
	v_or_b32_e32 v5, v12, v5
	v_cmp_gt_i32_e32 vcc, 1, v8
	s_nop 1
	v_cndmask_b32_e32 v5, v10, v5, vcc
	v_and_b32_e32 v10, 7, v5
	v_cmp_lt_i32_e32 vcc, 5, v10
	v_cmp_eq_u32_e64 s[0:1], 3, v10
	v_lshrrev_b32_e32 v5, 2, v5
	s_or_b64 vcc, s[0:1], vcc
	v_mul_f16_sdwa v10, v195, v14 dst_sel:DWORD dst_unused:UNUSED_PAD src0_sel:WORD_1 src1_sel:DWORD
	v_addc_co_u32_e32 v5, vcc, 0, v5, vcc
	v_fma_f16 v3, v195, v3, -v10
	v_cmp_gt_i32_e32 vcc, 31, v8
	v_cvt_f32_f16_e32 v3, v3
	s_nop 0
	v_cndmask_b32_e32 v5, v18, v5, vcc
	v_cmp_ne_u32_e32 vcc, 0, v1
	s_nop 1
	v_cndmask_b32_e64 v1, 0, 1, vcc
	v_lshl_or_b32 v1, v1, 9, v18
	v_cmp_eq_u32_e32 vcc, s9, v8
	s_nop 1
	v_cndmask_b32_e32 v1, v5, v1, vcc
	v_and_b32_sdwa v5, v11, s10 dst_sel:DWORD dst_unused:UNUSED_PAD src0_sel:WORD_1 src1_sel:DWORD
	v_cvt_f64_f32_e32 v[10:11], v3
	v_mul_f64 v[10:11], v[10:11], s[2:3]
	v_and_or_b32 v3, v11, s7, v10
	v_cmp_ne_u32_e32 vcc, 0, v3
	v_lshrrev_b32_e32 v8, 8, v11
	v_bfe_u32 v10, v11, 20, 11
	v_cndmask_b32_e64 v3, 0, 1, vcc
	v_and_or_b32 v3, v8, s8, v3
	v_sub_u32_e32 v12, 0x3f1, v10
	v_or_b32_e32 v8, 0x1000, v3
	v_med3_i32 v12, v12, 0, 13
	v_lshrrev_b32_e32 v14, v12, v8
	v_lshlrev_b32_e32 v12, v12, v14
	v_cmp_ne_u32_e32 vcc, v12, v8
	v_add_u32_e32 v10, 0xfffffc10, v10
	v_lshl_or_b32 v12, v10, 12, v3
	v_cndmask_b32_e64 v8, 0, 1, vcc
	v_or_b32_e32 v8, v14, v8
	v_cmp_gt_i32_e32 vcc, 1, v10
	v_bitop3_b32 v1, v5, s6, v1 bitop3:0xc8
	s_nop 0
	v_cndmask_b32_e32 v8, v12, v8, vcc
	v_and_b32_e32 v12, 7, v8
	v_cmp_lt_i32_e32 vcc, 5, v12
	v_cmp_eq_u32_e64 s[0:1], 3, v12
	v_lshrrev_b32_e32 v8, 2, v8
	s_or_b64 vcc, s[0:1], vcc
	v_addc_co_u32_e32 v8, vcc, 0, v8, vcc
	v_cmp_gt_i32_e32 vcc, 31, v10
	s_nop 1
	v_cndmask_b32_e32 v8, v18, v8, vcc
	v_cmp_ne_u32_e32 vcc, 0, v3
	s_nop 1
	v_cndmask_b32_e64 v3, 0, 1, vcc
	v_lshl_or_b32 v3, v3, 9, v18
	v_cmp_eq_u32_e32 vcc, s9, v10
	s_nop 1
	v_cndmask_b32_e32 v3, v8, v3, vcc
	v_lshrrev_b32_e32 v8, 16, v11
	v_and_or_b32 v3, v8, s10, v3
	v_lshl_or_b32 v1, v3, 16, v1
	v_lshrrev_b32_e32 v3, 16, v13
	v_mul_f16_sdwa v5, v187, v3 dst_sel:DWORD dst_unused:UNUSED_PAD src0_sel:WORD_1 src1_sel:DWORD
	v_fma_f16 v5, v187, v13, v5
	v_cvt_f32_f16_e32 v5, v5
	v_mad_u64_u32 v[10:11], s[0:1], s4, v153, v[6:7]
	v_add_u32_e32 v11, s11, v11
	v_cvt_f64_f32_e32 v[6:7], v5
	v_mul_f64 v[6:7], v[6:7], s[2:3]
	global_store_dword v[10:11], v1, off
	v_and_or_b32 v1, v7, s7, v6
	v_cmp_ne_u32_e32 vcc, 0, v1
	v_lshrrev_b32_e32 v5, 8, v7
	v_bfe_u32 v6, v7, 20, 11
	v_cndmask_b32_e64 v1, 0, 1, vcc
	v_and_or_b32 v1, v5, s8, v1
	v_sub_u32_e32 v8, 0x3f1, v6
	v_or_b32_e32 v5, 0x1000, v1
	v_med3_i32 v8, v8, 0, 13
	v_lshrrev_b32_e32 v12, v8, v5
	v_lshlrev_b32_e32 v8, v8, v12
	v_cmp_ne_u32_e32 vcc, v8, v5
	v_add_u32_e32 v6, 0xfffffc10, v6
	v_lshl_or_b32 v8, v6, 12, v1
	v_cndmask_b32_e64 v5, 0, 1, vcc
	v_or_b32_e32 v5, v12, v5
	v_cmp_gt_i32_e32 vcc, 1, v6
	s_nop 1
	v_cndmask_b32_e32 v5, v8, v5, vcc
	v_and_b32_e32 v8, 7, v5
	v_cmp_lt_i32_e32 vcc, 5, v8
	v_cmp_eq_u32_e64 s[0:1], 3, v8
	v_lshrrev_b32_e32 v5, 2, v5
	s_or_b64 vcc, s[0:1], vcc
	v_mul_f16_sdwa v8, v187, v13 dst_sel:DWORD dst_unused:UNUSED_PAD src0_sel:WORD_1 src1_sel:DWORD
	v_addc_co_u32_e32 v5, vcc, 0, v5, vcc
	v_fma_f16 v3, v187, v3, -v8
	v_cmp_gt_i32_e32 vcc, 31, v6
	v_cvt_f32_f16_e32 v3, v3
	s_nop 0
	v_cndmask_b32_e32 v5, v18, v5, vcc
	v_cmp_ne_u32_e32 vcc, 0, v1
	s_nop 1
	v_cndmask_b32_e64 v1, 0, 1, vcc
	v_lshl_or_b32 v1, v1, 9, v18
	v_cmp_eq_u32_e32 vcc, s9, v6
	s_nop 1
	v_cndmask_b32_e32 v1, v5, v1, vcc
	v_and_b32_sdwa v5, v7, s10 dst_sel:DWORD dst_unused:UNUSED_PAD src0_sel:WORD_1 src1_sel:DWORD
	v_cvt_f64_f32_e32 v[6:7], v3
	v_mul_f64 v[12:13], v[6:7], s[2:3]
	v_and_or_b32 v3, v13, s7, v12
	v_cmp_ne_u32_e32 vcc, 0, v3
	v_lshrrev_b32_e32 v6, 8, v13
	v_bfe_u32 v7, v13, 20, 11
	v_cndmask_b32_e64 v3, 0, 1, vcc
	v_and_or_b32 v3, v6, s8, v3
	v_sub_u32_e32 v8, 0x3f1, v7
	v_or_b32_e32 v6, 0x1000, v3
	v_med3_i32 v8, v8, 0, 13
	v_lshrrev_b32_e32 v12, v8, v6
	v_lshlrev_b32_e32 v8, v8, v12
	v_cmp_ne_u32_e32 vcc, v8, v6
	v_add_u32_e32 v7, 0xfffffc10, v7
	v_lshl_or_b32 v8, v7, 12, v3
	v_cndmask_b32_e64 v6, 0, 1, vcc
	v_or_b32_e32 v6, v12, v6
	v_cmp_gt_i32_e32 vcc, 1, v7
	v_bitop3_b32 v1, v5, s6, v1 bitop3:0xc8
	s_nop 0
	v_cndmask_b32_e32 v6, v8, v6, vcc
	v_and_b32_e32 v8, 7, v6
	v_cmp_lt_i32_e32 vcc, 5, v8
	v_cmp_eq_u32_e64 s[0:1], 3, v8
	v_lshrrev_b32_e32 v6, 2, v6
	s_or_b64 vcc, s[0:1], vcc
	v_addc_co_u32_e32 v6, vcc, 0, v6, vcc
	v_cmp_gt_i32_e32 vcc, 31, v7
	v_lshrrev_b32_e32 v8, 16, v13
	v_mad_u64_u32 v[10:11], s[0:1], s4, v153, v[10:11]
	v_cndmask_b32_e32 v6, v18, v6, vcc
	v_cmp_ne_u32_e32 vcc, 0, v3
	v_add_u32_e32 v11, s11, v11
	s_nop 0
	v_cndmask_b32_e64 v3, 0, 1, vcc
	v_lshl_or_b32 v3, v3, 9, v18
	v_cmp_eq_u32_e32 vcc, s9, v7
	s_nop 1
	v_cndmask_b32_e32 v3, v6, v3, vcc
	ds_read2_b32 v[6:7], v132 offset0:98 offset1:147
	v_and_or_b32 v3, v8, s10, v3
	v_lshl_or_b32 v1, v3, 16, v1
	v_accvgpr_read_b32 v8, a32
	global_store_dword v[10:11], v1, off
	s_waitcnt lgkmcnt(0)
	v_lshrrev_b32_e32 v3, 16, v6
	v_mul_f16_sdwa v5, v8, v3 dst_sel:DWORD dst_unused:UNUSED_PAD src0_sel:WORD_1 src1_sel:DWORD
	v_fma_f16 v5, v8, v6, v5
	v_cvt_f32_f16_e32 v5, v5
	v_mul_f16_sdwa v6, v16, v6 dst_sel:DWORD dst_unused:UNUSED_PAD src0_sel:WORD_1 src1_sel:DWORD
	v_fma_f16 v3, v16, v3, -v6
	v_cvt_f32_f16_e32 v3, v3
	v_cvt_f64_f32_e32 v[12:13], v5
	v_mul_f64 v[12:13], v[12:13], s[2:3]
	v_and_or_b32 v1, v13, s7, v12
	v_cmp_ne_u32_e32 vcc, 0, v1
	v_lshrrev_b32_e32 v5, 8, v13
	v_bfe_u32 v8, v13, 20, 11
	v_cndmask_b32_e64 v1, 0, 1, vcc
	v_and_or_b32 v1, v5, s8, v1
	v_sub_u32_e32 v12, 0x3f1, v8
	v_or_b32_e32 v5, 0x1000, v1
	v_med3_i32 v12, v12, 0, 13
	v_lshrrev_b32_e32 v14, v12, v5
	v_lshlrev_b32_e32 v12, v12, v14
	v_cmp_ne_u32_e32 vcc, v12, v5
	v_add_u32_e32 v8, 0xfffffc10, v8
	v_lshl_or_b32 v12, v8, 12, v1
	v_cndmask_b32_e64 v5, 0, 1, vcc
	v_or_b32_e32 v5, v14, v5
	v_cmp_gt_i32_e32 vcc, 1, v8
	s_nop 1
	v_cndmask_b32_e32 v5, v12, v5, vcc
	v_and_b32_e32 v12, 7, v5
	v_cmp_lt_i32_e32 vcc, 5, v12
	v_cmp_eq_u32_e64 s[0:1], 3, v12
	v_lshrrev_b32_e32 v5, 2, v5
	s_or_b64 vcc, s[0:1], vcc
	v_addc_co_u32_e32 v5, vcc, 0, v5, vcc
	v_cmp_gt_i32_e32 vcc, 31, v8
	s_nop 1
	v_cndmask_b32_e32 v5, v18, v5, vcc
	v_cmp_ne_u32_e32 vcc, 0, v1
	s_nop 1
	v_cndmask_b32_e64 v1, 0, 1, vcc
	v_lshl_or_b32 v1, v1, 9, v18
	v_cmp_eq_u32_e32 vcc, s9, v8
	s_nop 1
	v_cndmask_b32_e32 v1, v5, v1, vcc
	v_and_b32_sdwa v5, v13, s10 dst_sel:DWORD dst_unused:UNUSED_PAD src0_sel:WORD_1 src1_sel:DWORD
	v_cvt_f64_f32_e32 v[12:13], v3
	v_mul_f64 v[12:13], v[12:13], s[2:3]
	v_and_or_b32 v3, v13, s7, v12
	v_cmp_ne_u32_e32 vcc, 0, v3
	v_lshrrev_b32_e32 v6, 8, v13
	v_bfe_u32 v8, v13, 20, 11
	v_cndmask_b32_e64 v3, 0, 1, vcc
	v_and_or_b32 v3, v6, s8, v3
	v_sub_u32_e32 v12, 0x3f1, v8
	v_or_b32_e32 v6, 0x1000, v3
	v_med3_i32 v12, v12, 0, 13
	v_lshrrev_b32_e32 v14, v12, v6
	v_lshlrev_b32_e32 v12, v12, v14
	v_cmp_ne_u32_e32 vcc, v12, v6
	v_add_u32_e32 v8, 0xfffffc10, v8
	v_lshl_or_b32 v12, v8, 12, v3
	v_cndmask_b32_e64 v6, 0, 1, vcc
	v_or_b32_e32 v6, v14, v6
	v_cmp_gt_i32_e32 vcc, 1, v8
	v_bitop3_b32 v1, v5, s6, v1 bitop3:0xc8
	v_accvgpr_read_b32 v14, a60
	v_cndmask_b32_e32 v6, v12, v6, vcc
	v_and_b32_e32 v12, 7, v6
	v_cmp_lt_i32_e32 vcc, 5, v12
	v_cmp_eq_u32_e64 s[0:1], 3, v12
	v_lshrrev_b32_e32 v6, 2, v6
	s_or_b64 vcc, s[0:1], vcc
	v_addc_co_u32_e32 v6, vcc, 0, v6, vcc
	v_cmp_gt_i32_e32 vcc, 31, v8
	s_nop 1
	v_cndmask_b32_e32 v6, v18, v6, vcc
	v_cmp_ne_u32_e32 vcc, 0, v3
	s_nop 1
	v_cndmask_b32_e64 v3, 0, 1, vcc
	v_lshl_or_b32 v3, v3, 9, v18
	v_cmp_eq_u32_e32 vcc, s9, v8
	s_nop 1
	v_cndmask_b32_e32 v3, v6, v3, vcc
	v_lshrrev_b32_e32 v6, 16, v13
	v_and_or_b32 v3, v6, s10, v3
	v_lshl_or_b32 v1, v3, 16, v1
	v_lshrrev_b32_e32 v3, 16, v17
	v_accvgpr_read_b32 v6, a60
	v_mul_f16_sdwa v5, v6, v3 dst_sel:DWORD dst_unused:UNUSED_PAD src0_sel:WORD_1 src1_sel:DWORD
	v_fma_f16 v5, v6, v17, v5
	v_cvt_f32_f16_e32 v5, v5
	v_mad_u64_u32 v[12:13], s[0:1], s4, v19, v[10:11]
	v_add_u32_e32 v13, s5, v13
	v_cvt_f64_f32_e32 v[10:11], v5
	v_mul_f64 v[10:11], v[10:11], s[2:3]
	global_store_dword v[12:13], v1, off
	v_and_or_b32 v1, v11, s7, v10
	v_cmp_ne_u32_e32 vcc, 0, v1
	v_lshrrev_b32_e32 v5, 8, v11
	v_bfe_u32 v6, v11, 20, 11
	v_cndmask_b32_e64 v1, 0, 1, vcc
	v_and_or_b32 v1, v5, s8, v1
	v_sub_u32_e32 v8, 0x3f1, v6
	v_or_b32_e32 v5, 0x1000, v1
	v_med3_i32 v8, v8, 0, 13
	v_lshrrev_b32_e32 v10, v8, v5
	v_lshlrev_b32_e32 v8, v8, v10
	v_cmp_ne_u32_e32 vcc, v8, v5
	v_add_u32_e32 v6, 0xfffffc10, v6
	v_lshl_or_b32 v8, v6, 12, v1
	v_cndmask_b32_e64 v5, 0, 1, vcc
	v_or_b32_e32 v5, v10, v5
	v_cmp_gt_i32_e32 vcc, 1, v6
	v_mov_b32_e32 v19, 0xffffe09c
	s_nop 0
	v_cndmask_b32_e32 v5, v8, v5, vcc
	v_and_b32_e32 v8, 7, v5
	v_cmp_lt_i32_e32 vcc, 5, v8
	v_cmp_eq_u32_e64 s[0:1], 3, v8
	v_lshrrev_b32_e32 v5, 2, v5
	s_or_b64 vcc, s[0:1], vcc
	v_mul_f16_sdwa v8, v14, v17 dst_sel:DWORD dst_unused:UNUSED_PAD src0_sel:WORD_1 src1_sel:DWORD
	v_addc_co_u32_e32 v5, vcc, 0, v5, vcc
	v_fma_f16 v3, v14, v3, -v8
	v_cmp_gt_i32_e32 vcc, 31, v6
	v_cvt_f32_f16_e32 v3, v3
	s_nop 0
	v_cndmask_b32_e32 v5, v18, v5, vcc
	v_cmp_ne_u32_e32 vcc, 0, v1
	s_nop 1
	v_cndmask_b32_e64 v1, 0, 1, vcc
	v_lshl_or_b32 v1, v1, 9, v18
	v_cmp_eq_u32_e32 vcc, s9, v6
	s_nop 1
	v_cndmask_b32_e32 v1, v5, v1, vcc
	v_and_b32_sdwa v5, v11, s10 dst_sel:DWORD dst_unused:UNUSED_PAD src0_sel:WORD_1 src1_sel:DWORD
	v_cvt_f64_f32_e32 v[10:11], v3
	v_mul_f64 v[16:17], v[10:11], s[2:3]
	v_and_or_b32 v3, v17, s7, v16
	v_cmp_ne_u32_e32 vcc, 0, v3
	v_lshrrev_b32_e32 v6, 8, v17
	v_bfe_u32 v8, v17, 20, 11
	v_cndmask_b32_e64 v3, 0, 1, vcc
	v_and_or_b32 v3, v6, s8, v3
	v_sub_u32_e32 v10, 0x3f1, v8
	v_or_b32_e32 v6, 0x1000, v3
	v_med3_i32 v10, v10, 0, 13
	v_lshrrev_b32_e32 v11, v10, v6
	v_lshlrev_b32_e32 v10, v10, v11
	v_cmp_ne_u32_e32 vcc, v10, v6
	v_add_u32_e32 v8, 0xfffffc10, v8
	v_lshl_or_b32 v10, v8, 12, v3
	v_cndmask_b32_e64 v6, 0, 1, vcc
	v_or_b32_e32 v6, v11, v6
	v_cmp_gt_i32_e32 vcc, 1, v8
	v_bitop3_b32 v1, v5, s6, v1 bitop3:0xc8
	s_nop 0
	v_cndmask_b32_e32 v6, v10, v6, vcc
	v_and_b32_e32 v10, 7, v6
	v_cmp_lt_i32_e32 vcc, 5, v10
	v_cmp_eq_u32_e64 s[0:1], 3, v10
	v_lshrrev_b32_e32 v6, 2, v6
	s_or_b64 vcc, s[0:1], vcc
	v_addc_co_u32_e32 v6, vcc, 0, v6, vcc
	v_cmp_gt_i32_e32 vcc, 31, v8
	ds_read2_b32 v[10:11], v161 offset0:16 offset1:65
	v_mad_u64_u32 v[12:13], s[0:1], s4, v153, v[12:13]
	v_cndmask_b32_e32 v6, v18, v6, vcc
	v_cmp_ne_u32_e32 vcc, 0, v3
	v_add_u32_e32 v13, s11, v13
	s_nop 0
	v_cndmask_b32_e64 v3, 0, 1, vcc
	v_lshl_or_b32 v3, v3, 9, v18
	v_cmp_eq_u32_e32 vcc, s9, v8
	s_nop 1
	v_cndmask_b32_e32 v3, v6, v3, vcc
	v_lshrrev_b32_e32 v6, 16, v17
	v_and_or_b32 v3, v6, s10, v3
	v_lshl_or_b32 v1, v3, 16, v1
	s_waitcnt lgkmcnt(0)
	v_lshrrev_b32_e32 v3, 16, v10
	v_mul_f16_sdwa v5, v236, v3 dst_sel:DWORD dst_unused:UNUSED_PAD src0_sel:WORD_1 src1_sel:DWORD
	v_fma_f16 v5, v236, v10, v5
	v_cvt_f32_f16_e32 v5, v5
	global_store_dword v[12:13], v1, off
	v_cvt_f64_f32_e32 v[16:17], v5
	v_mul_f64 v[16:17], v[16:17], s[2:3]
	v_and_or_b32 v1, v17, s7, v16
	v_cmp_ne_u32_e32 vcc, 0, v1
	v_lshrrev_b32_e32 v5, 8, v17
	v_bfe_u32 v6, v17, 20, 11
	v_cndmask_b32_e64 v1, 0, 1, vcc
	v_and_or_b32 v1, v5, s8, v1
	v_sub_u32_e32 v8, 0x3f1, v6
	v_or_b32_e32 v5, 0x1000, v1
	v_med3_i32 v8, v8, 0, 13
	v_lshrrev_b32_e32 v14, v8, v5
	v_lshlrev_b32_e32 v8, v8, v14
	v_cmp_ne_u32_e32 vcc, v8, v5
	v_add_u32_e32 v6, 0xfffffc10, v6
	v_lshl_or_b32 v8, v6, 12, v1
	v_cndmask_b32_e64 v5, 0, 1, vcc
	v_or_b32_e32 v5, v14, v5
	v_cmp_gt_i32_e32 vcc, 1, v6
	s_nop 1
	v_cndmask_b32_e32 v5, v8, v5, vcc
	v_and_b32_e32 v8, 7, v5
	v_cmp_lt_i32_e32 vcc, 5, v8
	v_cmp_eq_u32_e64 s[0:1], 3, v8
	v_lshrrev_b32_e32 v5, 2, v5
	s_or_b64 vcc, s[0:1], vcc
	v_mul_f16_sdwa v8, v236, v10 dst_sel:DWORD dst_unused:UNUSED_PAD src0_sel:WORD_1 src1_sel:DWORD
	v_addc_co_u32_e32 v5, vcc, 0, v5, vcc
	v_fma_f16 v3, v236, v3, -v8
	v_cmp_gt_i32_e32 vcc, 31, v6
	v_cvt_f32_f16_e32 v3, v3
	s_nop 0
	v_cndmask_b32_e32 v5, v18, v5, vcc
	v_cmp_ne_u32_e32 vcc, 0, v1
	s_nop 1
	v_cndmask_b32_e64 v1, 0, 1, vcc
	v_lshl_or_b32 v1, v1, 9, v18
	v_cmp_eq_u32_e32 vcc, s9, v6
	s_nop 1
	v_cndmask_b32_e32 v1, v5, v1, vcc
	v_and_b32_sdwa v5, v17, s10 dst_sel:DWORD dst_unused:UNUSED_PAD src0_sel:WORD_1 src1_sel:DWORD
	v_cvt_f64_f32_e32 v[16:17], v3
	v_mul_f64 v[16:17], v[16:17], s[2:3]
	v_and_or_b32 v3, v17, s7, v16
	v_cmp_ne_u32_e32 vcc, 0, v3
	v_lshrrev_b32_e32 v6, 8, v17
	v_bfe_u32 v8, v17, 20, 11
	v_cndmask_b32_e64 v3, 0, 1, vcc
	v_and_or_b32 v3, v6, s8, v3
	v_sub_u32_e32 v10, 0x3f1, v8
	v_or_b32_e32 v6, 0x1000, v3
	v_med3_i32 v10, v10, 0, 13
	v_lshrrev_b32_e32 v14, v10, v6
	v_lshlrev_b32_e32 v10, v10, v14
	v_cmp_ne_u32_e32 vcc, v10, v6
	v_add_u32_e32 v8, 0xfffffc10, v8
	v_lshl_or_b32 v10, v8, 12, v3
	v_cndmask_b32_e64 v6, 0, 1, vcc
	v_or_b32_e32 v6, v14, v6
	v_cmp_gt_i32_e32 vcc, 1, v8
	v_bitop3_b32 v1, v5, s6, v1 bitop3:0xc8
	v_accvgpr_read_b32 v14, a31
	v_cndmask_b32_e32 v6, v10, v6, vcc
	v_and_b32_e32 v10, 7, v6
	v_cmp_lt_i32_e32 vcc, 5, v10
	v_cmp_eq_u32_e64 s[0:1], 3, v10
	v_lshrrev_b32_e32 v6, 2, v6
	s_or_b64 vcc, s[0:1], vcc
	v_addc_co_u32_e32 v6, vcc, 0, v6, vcc
	v_cmp_gt_i32_e32 vcc, 31, v8
	s_nop 1
	v_cndmask_b32_e32 v6, v18, v6, vcc
	v_cmp_ne_u32_e32 vcc, 0, v3
	s_nop 1
	v_cndmask_b32_e64 v3, 0, 1, vcc
	v_lshl_or_b32 v3, v3, 9, v18
	v_cmp_eq_u32_e32 vcc, s9, v8
	s_nop 1
	v_cndmask_b32_e32 v3, v6, v3, vcc
	v_lshrrev_b32_e32 v6, 16, v17
	v_and_or_b32 v3, v6, s10, v3
	v_lshl_or_b32 v1, v3, 16, v1
	v_lshrrev_b32_e32 v3, 16, v9
	v_accvgpr_read_b32 v6, a31
	v_mul_f16_sdwa v5, v6, v3 dst_sel:DWORD dst_unused:UNUSED_PAD src0_sel:WORD_1 src1_sel:DWORD
	v_fma_f16 v5, v6, v9, v5
	v_cvt_f32_f16_e32 v5, v5
	v_mad_u64_u32 v[16:17], s[0:1], s4, v153, v[12:13]
	v_add_u32_e32 v17, s11, v17
	v_cvt_f64_f32_e32 v[12:13], v5
	v_mul_f64 v[12:13], v[12:13], s[2:3]
	global_store_dword v[16:17], v1, off
	v_and_or_b32 v1, v13, s7, v12
	v_cmp_ne_u32_e32 vcc, 0, v1
	v_lshrrev_b32_e32 v5, 8, v13
	v_bfe_u32 v6, v13, 20, 11
	v_cndmask_b32_e64 v1, 0, 1, vcc
	v_and_or_b32 v1, v5, s8, v1
	v_sub_u32_e32 v8, 0x3f1, v6
	v_or_b32_e32 v5, 0x1000, v1
	v_med3_i32 v8, v8, 0, 13
	v_lshrrev_b32_e32 v10, v8, v5
	v_lshlrev_b32_e32 v8, v8, v10
	v_cmp_ne_u32_e32 vcc, v8, v5
	v_add_u32_e32 v6, 0xfffffc10, v6
	v_lshl_or_b32 v8, v6, 12, v1
	v_cndmask_b32_e64 v5, 0, 1, vcc
	v_or_b32_e32 v5, v10, v5
	v_cmp_gt_i32_e32 vcc, 1, v6
	s_nop 1
	v_cndmask_b32_e32 v5, v8, v5, vcc
	v_and_b32_e32 v8, 7, v5
	v_cmp_lt_i32_e32 vcc, 5, v8
	v_cmp_eq_u32_e64 s[0:1], 3, v8
	v_mul_f16_sdwa v8, v14, v9 dst_sel:DWORD dst_unused:UNUSED_PAD src0_sel:WORD_1 src1_sel:DWORD
	v_fma_f16 v3, v14, v3, -v8
	v_cvt_f32_f16_e32 v3, v3
	v_lshrrev_b32_e32 v5, 2, v5
	s_or_b64 vcc, s[0:1], vcc
	v_addc_co_u32_e32 v5, vcc, 0, v5, vcc
	v_cmp_gt_i32_e32 vcc, 31, v6
	v_cvt_f64_f32_e32 v[8:9], v3
	v_mul_f64 v[8:9], v[8:9], s[2:3]
	v_cndmask_b32_e32 v5, v18, v5, vcc
	v_cmp_ne_u32_e32 vcc, 0, v1
	v_and_or_b32 v3, v9, s7, v8
	v_bfe_u32 v8, v9, 20, 11
	v_cndmask_b32_e64 v1, 0, 1, vcc
	v_lshl_or_b32 v1, v1, 9, v18
	v_cmp_eq_u32_e32 vcc, s9, v6
	v_lshrrev_b32_e32 v6, 8, v9
	v_sub_u32_e32 v10, 0x3f1, v8
	v_cndmask_b32_e32 v1, v5, v1, vcc
	v_cmp_ne_u32_e32 vcc, 0, v3
	v_med3_i32 v10, v10, 0, 13
	v_add_u32_e32 v8, 0xfffffc10, v8
	v_cndmask_b32_e64 v3, 0, 1, vcc
	v_and_or_b32 v3, v6, s8, v3
	v_or_b32_e32 v6, 0x1000, v3
	v_lshrrev_b32_e32 v12, v10, v6
	v_lshlrev_b32_e32 v10, v10, v12
	v_cmp_ne_u32_e32 vcc, v10, v6
	v_lshl_or_b32 v10, v8, 12, v3
	v_and_b32_sdwa v5, v13, s10 dst_sel:DWORD dst_unused:UNUSED_PAD src0_sel:WORD_1 src1_sel:DWORD
	v_cndmask_b32_e64 v6, 0, 1, vcc
	v_or_b32_e32 v6, v12, v6
	v_cmp_gt_i32_e32 vcc, 1, v8
	ds_read2_b32 v[12:13], v163 offset0:190 offset1:239
	v_bitop3_b32 v1, v5, s6, v1 bitop3:0xc8
	v_cndmask_b32_e32 v6, v10, v6, vcc
	v_and_b32_e32 v10, 7, v6
	v_cmp_lt_i32_e32 vcc, 5, v10
	v_cmp_eq_u32_e64 s[0:1], 3, v10
	v_lshrrev_b32_e32 v6, 2, v6
	s_or_b64 vcc, s[0:1], vcc
	v_addc_co_u32_e32 v6, vcc, 0, v6, vcc
	v_cmp_gt_i32_e32 vcc, 31, v8
	s_nop 1
	v_cndmask_b32_e32 v6, v18, v6, vcc
	v_cmp_ne_u32_e32 vcc, 0, v3
	s_nop 1
	v_cndmask_b32_e64 v3, 0, 1, vcc
	v_lshl_or_b32 v3, v3, 9, v18
	v_cmp_eq_u32_e32 vcc, s9, v8
	s_nop 1
	v_cndmask_b32_e32 v3, v6, v3, vcc
	v_lshrrev_b32_e32 v6, 16, v9
	v_and_or_b32 v3, v6, s10, v3
	v_lshl_or_b32 v1, v3, 16, v1
	s_waitcnt lgkmcnt(0)
	v_lshrrev_b32_e32 v3, 16, v12
	v_accvgpr_read_b32 v6, a30
	v_mul_f16_sdwa v5, v6, v3 dst_sel:DWORD dst_unused:UNUSED_PAD src0_sel:WORD_1 src1_sel:DWORD
	v_fma_f16 v5, v6, v12, v5
	v_cvt_f32_f16_e32 v5, v5
	v_mad_u64_u32 v[8:9], s[0:1], s4, v153, v[16:17]
	v_add_u32_e32 v9, s11, v9
	v_cvt_f64_f32_e32 v[16:17], v5
	v_mul_f64 v[16:17], v[16:17], s[2:3]
	global_store_dword v[8:9], v1, off
	v_and_or_b32 v1, v17, s7, v16
	v_cmp_ne_u32_e32 vcc, 0, v1
	v_lshrrev_b32_e32 v5, 8, v17
	v_bfe_u32 v6, v17, 20, 11
	v_cndmask_b32_e64 v1, 0, 1, vcc
	v_and_or_b32 v1, v5, s8, v1
	v_sub_u32_e32 v10, 0x3f1, v6
	v_or_b32_e32 v5, 0x1000, v1
	v_med3_i32 v10, v10, 0, 13
	v_lshrrev_b32_e32 v14, v10, v5
	v_lshlrev_b32_e32 v10, v10, v14
	v_cmp_ne_u32_e32 vcc, v10, v5
	v_add_u32_e32 v6, 0xfffffc10, v6
	v_lshl_or_b32 v10, v6, 12, v1
	v_cndmask_b32_e64 v5, 0, 1, vcc
	v_or_b32_e32 v5, v14, v5
	v_cmp_gt_i32_e32 vcc, 1, v6
	s_nop 1
	v_cndmask_b32_e32 v5, v10, v5, vcc
	v_and_b32_e32 v10, 7, v5
	v_cmp_lt_i32_e32 vcc, 5, v10
	v_cmp_eq_u32_e64 s[0:1], 3, v10
	v_lshrrev_b32_e32 v5, 2, v5
	s_or_b64 vcc, s[0:1], vcc
	v_mul_f16_sdwa v10, v20, v12 dst_sel:DWORD dst_unused:UNUSED_PAD src0_sel:WORD_1 src1_sel:DWORD
	v_addc_co_u32_e32 v5, vcc, 0, v5, vcc
	v_fma_f16 v3, v20, v3, -v10
	v_cmp_gt_i32_e32 vcc, 31, v6
	v_cvt_f32_f16_e32 v3, v3
	v_accvgpr_read_b32 v20, a28
	v_cndmask_b32_e32 v5, v18, v5, vcc
	v_cmp_ne_u32_e32 vcc, 0, v1
	s_nop 1
	v_cndmask_b32_e64 v1, 0, 1, vcc
	v_lshl_or_b32 v1, v1, 9, v18
	v_cmp_eq_u32_e32 vcc, s9, v6
	s_nop 1
	v_cndmask_b32_e32 v1, v5, v1, vcc
	v_and_b32_sdwa v5, v17, s10 dst_sel:DWORD dst_unused:UNUSED_PAD src0_sel:WORD_1 src1_sel:DWORD
	v_cvt_f64_f32_e32 v[16:17], v3
	v_mul_f64 v[16:17], v[16:17], s[2:3]
	v_and_or_b32 v3, v17, s7, v16
	v_cmp_ne_u32_e32 vcc, 0, v3
	v_lshrrev_b32_e32 v6, 8, v17
	v_bfe_u32 v10, v17, 20, 11
	v_cndmask_b32_e64 v3, 0, 1, vcc
	v_and_or_b32 v3, v6, s8, v3
	v_sub_u32_e32 v12, 0x3f1, v10
	v_or_b32_e32 v6, 0x1000, v3
	v_med3_i32 v12, v12, 0, 13
	v_lshrrev_b32_e32 v14, v12, v6
	v_lshlrev_b32_e32 v12, v12, v14
	v_cmp_ne_u32_e32 vcc, v12, v6
	v_add_u32_e32 v10, 0xfffffc10, v10
	v_lshl_or_b32 v12, v10, 12, v3
	v_cndmask_b32_e64 v6, 0, 1, vcc
	v_or_b32_e32 v6, v14, v6
	v_cmp_gt_i32_e32 vcc, 1, v10
	v_bitop3_b32 v1, v5, s6, v1 bitop3:0xc8
	v_accvgpr_read_b32 v14, a29
	v_cndmask_b32_e32 v6, v12, v6, vcc
	v_and_b32_e32 v12, 7, v6
	v_cmp_lt_i32_e32 vcc, 5, v12
	v_cmp_eq_u32_e64 s[0:1], 3, v12
	v_lshrrev_b32_e32 v6, 2, v6
	s_or_b64 vcc, s[0:1], vcc
	v_addc_co_u32_e32 v6, vcc, 0, v6, vcc
	v_cmp_gt_i32_e32 vcc, 31, v10
	v_mad_u64_u32 v[8:9], s[0:1], s4, v153, v[8:9]
	s_nop 0
	v_cndmask_b32_e32 v6, v18, v6, vcc
	v_cmp_ne_u32_e32 vcc, 0, v3
	v_add_u32_e32 v9, s11, v9
	s_nop 0
	v_cndmask_b32_e64 v3, 0, 1, vcc
	v_lshl_or_b32 v3, v3, 9, v18
	v_cmp_eq_u32_e32 vcc, s9, v10
	s_nop 1
	v_cndmask_b32_e32 v3, v6, v3, vcc
	v_lshrrev_b32_e32 v6, 16, v17
	v_and_or_b32 v3, v6, s10, v3
	v_lshl_or_b32 v1, v3, 16, v1
	v_lshrrev_b32_e32 v3, 16, v15
	v_accvgpr_read_b32 v6, a29
	v_mul_f16_sdwa v5, v6, v3 dst_sel:DWORD dst_unused:UNUSED_PAD src0_sel:WORD_1 src1_sel:DWORD
	v_fma_f16 v5, v6, v15, v5
	v_cvt_f32_f16_e32 v5, v5
	global_store_dword v[8:9], v1, off
	v_cvt_f64_f32_e32 v[16:17], v5
	v_mul_f64 v[16:17], v[16:17], s[2:3]
	v_and_or_b32 v1, v17, s7, v16
	v_cmp_ne_u32_e32 vcc, 0, v1
	v_lshrrev_b32_e32 v5, 8, v17
	v_bfe_u32 v6, v17, 20, 11
	v_cndmask_b32_e64 v1, 0, 1, vcc
	v_and_or_b32 v1, v5, s8, v1
	v_sub_u32_e32 v10, 0x3f1, v6
	v_or_b32_e32 v5, 0x1000, v1
	v_med3_i32 v10, v10, 0, 13
	v_lshrrev_b32_e32 v12, v10, v5
	v_lshlrev_b32_e32 v10, v10, v12
	v_cmp_ne_u32_e32 vcc, v10, v5
	v_add_u32_e32 v6, 0xfffffc10, v6
	v_lshl_or_b32 v10, v6, 12, v1
	v_cndmask_b32_e64 v5, 0, 1, vcc
	v_or_b32_e32 v5, v12, v5
	v_cmp_gt_i32_e32 vcc, 1, v6
	s_nop 1
	v_cndmask_b32_e32 v5, v10, v5, vcc
	v_and_b32_e32 v10, 7, v5
	v_cmp_lt_i32_e32 vcc, 5, v10
	v_cmp_eq_u32_e64 s[0:1], 3, v10
	v_mul_f16_sdwa v10, v14, v15 dst_sel:DWORD dst_unused:UNUSED_PAD src0_sel:WORD_1 src1_sel:DWORD
	v_lshrrev_b32_e32 v5, 2, v5
	s_or_b64 vcc, s[0:1], vcc
	v_fma_f16 v3, v14, v3, -v10
	v_addc_co_u32_e32 v5, vcc, 0, v5, vcc
	v_cvt_f32_f16_e32 v3, v3
	v_cmp_gt_i32_e32 vcc, 31, v6
	v_cvt_f64_f32_e32 v[14:15], v3
	s_nop 0
	v_cndmask_b32_e32 v5, v18, v5, vcc
	v_cmp_ne_u32_e32 vcc, 0, v1
	s_nop 1
	v_cndmask_b32_e64 v1, 0, 1, vcc
	v_lshl_or_b32 v1, v1, 9, v18
	v_cmp_eq_u32_e32 vcc, s9, v6
	s_nop 1
	v_cndmask_b32_e32 v1, v5, v1, vcc
	v_and_b32_sdwa v5, v17, s10 dst_sel:DWORD dst_unused:UNUSED_PAD src0_sel:WORD_1 src1_sel:DWORD
	v_mul_f64 v[16:17], v[14:15], s[2:3]
	v_and_or_b32 v3, v17, s7, v16
	v_cmp_ne_u32_e32 vcc, 0, v3
	v_lshrrev_b32_e32 v6, 8, v17
	v_bfe_u32 v10, v17, 20, 11
	v_cndmask_b32_e64 v3, 0, 1, vcc
	v_and_or_b32 v3, v6, s8, v3
	v_sub_u32_e32 v12, 0x3f1, v10
	v_or_b32_e32 v6, 0x1000, v3
	v_med3_i32 v12, v12, 0, 13
	v_lshrrev_b32_e32 v14, v12, v6
	v_lshlrev_b32_e32 v12, v12, v14
	v_cmp_ne_u32_e32 vcc, v12, v6
	v_add_u32_e32 v10, 0xfffffc10, v10
	v_lshl_or_b32 v12, v10, 12, v3
	v_cndmask_b32_e64 v6, 0, 1, vcc
	v_or_b32_e32 v6, v14, v6
	v_cmp_gt_i32_e32 vcc, 1, v10
	ds_read2_b32 v[14:15], v209 offset0:108 offset1:157
	v_bitop3_b32 v1, v5, s6, v1 bitop3:0xc8
	v_cndmask_b32_e32 v6, v12, v6, vcc
	v_and_b32_e32 v12, 7, v6
	v_cmp_lt_i32_e32 vcc, 5, v12
	v_cmp_eq_u32_e64 s[0:1], 3, v12
	v_lshrrev_b32_e32 v6, 2, v6
	s_or_b64 vcc, s[0:1], vcc
	v_addc_co_u32_e32 v6, vcc, 0, v6, vcc
	v_cmp_gt_i32_e32 vcc, 31, v10
	v_mad_u64_u32 v[8:9], s[0:1], s4, v153, v[8:9]
	s_nop 0
	v_cndmask_b32_e32 v6, v18, v6, vcc
	v_cmp_ne_u32_e32 vcc, 0, v3
	v_add_u32_e32 v9, s11, v9
	s_nop 0
	v_cndmask_b32_e64 v3, 0, 1, vcc
	v_lshl_or_b32 v3, v3, 9, v18
	v_cmp_eq_u32_e32 vcc, s9, v10
	s_nop 1
	v_cndmask_b32_e32 v3, v6, v3, vcc
	v_lshrrev_b32_e32 v6, 16, v17
	v_and_or_b32 v3, v6, s10, v3
	v_lshl_or_b32 v1, v3, 16, v1
	s_waitcnt lgkmcnt(0)
	v_lshrrev_b32_e32 v3, 16, v14
	v_accvgpr_read_b32 v6, a28
	v_mul_f16_sdwa v5, v6, v3 dst_sel:DWORD dst_unused:UNUSED_PAD src0_sel:WORD_1 src1_sel:DWORD
	v_fma_f16 v5, v6, v14, v5
	v_cvt_f32_f16_e32 v5, v5
	global_store_dword v[8:9], v1, off
	v_cvt_f64_f32_e32 v[16:17], v5
	v_mul_f64 v[16:17], v[16:17], s[2:3]
	v_and_or_b32 v1, v17, s7, v16
	v_cmp_ne_u32_e32 vcc, 0, v1
	v_lshrrev_b32_e32 v5, 8, v17
	v_bfe_u32 v6, v17, 20, 11
	v_cndmask_b32_e64 v1, 0, 1, vcc
	v_and_or_b32 v1, v5, s8, v1
	v_sub_u32_e32 v10, 0x3f1, v6
	v_or_b32_e32 v5, 0x1000, v1
	v_med3_i32 v10, v10, 0, 13
	v_lshrrev_b32_e32 v12, v10, v5
	v_lshlrev_b32_e32 v10, v10, v12
	v_cmp_ne_u32_e32 vcc, v10, v5
	v_add_u32_e32 v6, 0xfffffc10, v6
	v_lshl_or_b32 v10, v6, 12, v1
	v_cndmask_b32_e64 v5, 0, 1, vcc
	v_or_b32_e32 v5, v12, v5
	v_cmp_gt_i32_e32 vcc, 1, v6
	s_nop 1
	v_cndmask_b32_e32 v5, v10, v5, vcc
	v_and_b32_e32 v10, 7, v5
	v_cmp_lt_i32_e32 vcc, 5, v10
	v_cmp_eq_u32_e64 s[0:1], 3, v10
	v_lshrrev_b32_e32 v5, 2, v5
	s_or_b64 vcc, s[0:1], vcc
	v_mul_f16_sdwa v10, v20, v14 dst_sel:DWORD dst_unused:UNUSED_PAD src0_sel:WORD_1 src1_sel:DWORD
	v_addc_co_u32_e32 v5, vcc, 0, v5, vcc
	v_fma_f16 v3, v20, v3, -v10
	v_cmp_gt_i32_e32 vcc, 31, v6
	v_cvt_f32_f16_e32 v3, v3
	v_accvgpr_read_b32 v20, a26
	v_cndmask_b32_e32 v5, v18, v5, vcc
	v_cmp_ne_u32_e32 vcc, 0, v1
	s_nop 1
	v_cndmask_b32_e64 v1, 0, 1, vcc
	v_lshl_or_b32 v1, v1, 9, v18
	v_cmp_eq_u32_e32 vcc, s9, v6
	s_nop 1
	v_cndmask_b32_e32 v1, v5, v1, vcc
	v_and_b32_sdwa v5, v17, s10 dst_sel:DWORD dst_unused:UNUSED_PAD src0_sel:WORD_1 src1_sel:DWORD
	v_cvt_f64_f32_e32 v[16:17], v3
	v_mul_f64 v[16:17], v[16:17], s[2:3]
	v_and_or_b32 v3, v17, s7, v16
	v_cmp_ne_u32_e32 vcc, 0, v3
	v_lshrrev_b32_e32 v6, 8, v17
	v_bfe_u32 v10, v17, 20, 11
	v_cndmask_b32_e64 v3, 0, 1, vcc
	v_and_or_b32 v3, v6, s8, v3
	v_sub_u32_e32 v12, 0x3f1, v10
	v_or_b32_e32 v6, 0x1000, v3
	v_med3_i32 v12, v12, 0, 13
	v_lshrrev_b32_e32 v14, v12, v6
	v_lshlrev_b32_e32 v12, v12, v14
	v_cmp_ne_u32_e32 vcc, v12, v6
	v_add_u32_e32 v10, 0xfffffc10, v10
	v_lshl_or_b32 v12, v10, 12, v3
	v_cndmask_b32_e64 v6, 0, 1, vcc
	v_or_b32_e32 v6, v14, v6
	v_cmp_gt_i32_e32 vcc, 1, v10
	v_bitop3_b32 v1, v5, s6, v1 bitop3:0xc8
	s_nop 0
	v_cndmask_b32_e32 v6, v12, v6, vcc
	v_and_b32_e32 v12, 7, v6
	v_cmp_lt_i32_e32 vcc, 5, v12
	v_cmp_eq_u32_e64 s[0:1], 3, v12
	v_lshrrev_b32_e32 v6, 2, v6
	s_or_b64 vcc, s[0:1], vcc
	v_addc_co_u32_e32 v6, vcc, 0, v6, vcc
	v_cmp_gt_i32_e32 vcc, 31, v10
	v_accvgpr_read_b32 v12, a27
	s_nop 0
	v_cndmask_b32_e32 v6, v18, v6, vcc
	v_cmp_ne_u32_e32 vcc, 0, v3
	s_nop 1
	v_cndmask_b32_e64 v3, 0, 1, vcc
	v_lshl_or_b32 v3, v3, 9, v18
	v_cmp_eq_u32_e32 vcc, s9, v10
	s_nop 1
	v_cndmask_b32_e32 v3, v6, v3, vcc
	v_lshrrev_b32_e32 v6, 16, v17
	v_and_or_b32 v3, v6, s10, v3
	v_lshl_or_b32 v1, v3, 16, v1
	v_lshrrev_b32_e32 v3, 16, v7
	v_accvgpr_read_b32 v6, a27
	v_mul_f16_sdwa v5, v6, v3 dst_sel:DWORD dst_unused:UNUSED_PAD src0_sel:WORD_1 src1_sel:DWORD
	v_fma_f16 v5, v6, v7, v5
	v_cvt_f32_f16_e32 v5, v5
	v_mad_u64_u32 v[16:17], s[0:1], s4, v153, v[8:9]
	v_add_u32_e32 v17, s11, v17
	v_cvt_f64_f32_e32 v[8:9], v5
	v_mul_f64 v[8:9], v[8:9], s[2:3]
	global_store_dword v[16:17], v1, off
	v_and_or_b32 v1, v9, s7, v8
	v_cmp_ne_u32_e32 vcc, 0, v1
	v_lshrrev_b32_e32 v5, 8, v9
	v_bfe_u32 v6, v9, 20, 11
	v_cndmask_b32_e64 v1, 0, 1, vcc
	v_and_or_b32 v1, v5, s8, v1
	v_sub_u32_e32 v8, 0x3f1, v6
	v_or_b32_e32 v5, 0x1000, v1
	v_med3_i32 v8, v8, 0, 13
	v_lshrrev_b32_e32 v10, v8, v5
	v_lshlrev_b32_e32 v8, v8, v10
	v_cmp_ne_u32_e32 vcc, v8, v5
	v_add_u32_e32 v6, 0xfffffc10, v6
	v_lshl_or_b32 v8, v6, 12, v1
	v_cndmask_b32_e64 v5, 0, 1, vcc
	v_or_b32_e32 v5, v10, v5
	v_cmp_gt_i32_e32 vcc, 1, v6
	v_mul_f16_sdwa v7, v12, v7 dst_sel:DWORD dst_unused:UNUSED_PAD src0_sel:WORD_1 src1_sel:DWORD
	v_fma_f16 v3, v12, v3, -v7
	v_cndmask_b32_e32 v5, v8, v5, vcc
	v_and_b32_e32 v8, 7, v5
	v_cmp_lt_i32_e32 vcc, 5, v8
	v_cmp_eq_u32_e64 s[0:1], 3, v8
	v_lshrrev_b32_e32 v5, 2, v5
	s_or_b64 vcc, s[0:1], vcc
	v_cvt_f32_f16_e32 v3, v3
	v_addc_co_u32_e32 v5, vcc, 0, v5, vcc
	v_cmp_gt_i32_e32 vcc, 31, v6
	s_nop 1
	v_cndmask_b32_e32 v5, v18, v5, vcc
	v_cmp_ne_u32_e32 vcc, 0, v1
	s_nop 1
	v_cndmask_b32_e64 v1, 0, 1, vcc
	v_cmp_eq_u32_e32 vcc, s9, v6
	v_cvt_f64_f32_e32 v[6:7], v3
	v_mul_f64 v[6:7], v[6:7], s[2:3]
	v_lshl_or_b32 v1, v1, 9, v18
	v_and_or_b32 v3, v7, s7, v6
	v_cndmask_b32_e32 v1, v5, v1, vcc
	v_cmp_ne_u32_e32 vcc, 0, v3
	v_lshrrev_b32_e32 v6, 8, v7
	v_bfe_u32 v8, v7, 20, 11
	v_cndmask_b32_e64 v3, 0, 1, vcc
	v_and_b32_sdwa v5, v9, s10 dst_sel:DWORD dst_unused:UNUSED_PAD src0_sel:WORD_1 src1_sel:DWORD
	v_and_or_b32 v3, v6, s8, v3
	v_sub_u32_e32 v9, 0x3f1, v8
	v_or_b32_e32 v6, 0x1000, v3
	v_med3_i32 v9, v9, 0, 13
	v_lshrrev_b32_e32 v10, v9, v6
	v_lshlrev_b32_e32 v9, v9, v10
	v_cmp_ne_u32_e32 vcc, v9, v6
	v_add_u32_e32 v8, 0xfffffc10, v8
	v_lshl_or_b32 v9, v8, 12, v3
	v_cndmask_b32_e64 v6, 0, 1, vcc
	v_or_b32_e32 v6, v10, v6
	v_cmp_gt_i32_e32 vcc, 1, v8
	v_bitop3_b32 v1, v5, s6, v1 bitop3:0xc8
	s_nop 0
	v_cndmask_b32_e32 v6, v9, v6, vcc
	v_and_b32_e32 v9, 7, v6
	v_cmp_lt_i32_e32 vcc, 5, v9
	v_cmp_eq_u32_e64 s[0:1], 3, v9
	v_lshrrev_b32_e32 v6, 2, v6
	s_or_b64 vcc, s[0:1], vcc
	v_addc_co_u32_e32 v6, vcc, 0, v6, vcc
	v_cmp_gt_i32_e32 vcc, 31, v8
	s_nop 1
	v_cndmask_b32_e32 v6, v18, v6, vcc
	v_cmp_ne_u32_e32 vcc, 0, v3
	s_nop 1
	v_cndmask_b32_e64 v3, 0, 1, vcc
	v_cmp_eq_u32_e32 vcc, s9, v8
	ds_read2_b32 v[8:9], v173 offset0:106 offset1:155
	v_lshl_or_b32 v3, v3, 9, v18
	v_cndmask_b32_e32 v3, v6, v3, vcc
	v_lshrrev_b32_e32 v6, 16, v7
	v_and_or_b32 v3, v6, s10, v3
	v_lshl_or_b32 v1, v3, 16, v1
	s_waitcnt lgkmcnt(0)
	v_lshrrev_b32_e32 v3, 16, v8
	v_accvgpr_read_b32 v6, a26
	v_mul_f16_sdwa v5, v6, v3 dst_sel:DWORD dst_unused:UNUSED_PAD src0_sel:WORD_1 src1_sel:DWORD
	v_fma_f16 v5, v6, v8, v5
	v_cvt_f32_f16_e32 v5, v5
	v_mad_u64_u32 v[6:7], s[0:1], s4, v19, v[16:17]
	v_add_u32_e32 v7, s5, v7
	v_cvt_f64_f32_e32 v[16:17], v5
	v_mul_f64 v[16:17], v[16:17], s[2:3]
	global_store_dword v[6:7], v1, off
	v_and_or_b32 v1, v17, s7, v16
	v_cmp_ne_u32_e32 vcc, 0, v1
	v_lshrrev_b32_e32 v5, 8, v17
	v_bfe_u32 v10, v17, 20, 11
	v_cndmask_b32_e64 v1, 0, 1, vcc
	v_and_or_b32 v1, v5, s8, v1
	v_sub_u32_e32 v12, 0x3f1, v10
	v_or_b32_e32 v5, 0x1000, v1
	v_med3_i32 v12, v12, 0, 13
	v_lshrrev_b32_e32 v14, v12, v5
	v_lshlrev_b32_e32 v12, v12, v14
	v_cmp_ne_u32_e32 vcc, v12, v5
	v_add_u32_e32 v10, 0xfffffc10, v10
	v_lshl_or_b32 v12, v10, 12, v1
	v_cndmask_b32_e64 v5, 0, 1, vcc
	v_or_b32_e32 v5, v14, v5
	v_cmp_gt_i32_e32 vcc, 1, v10
	v_mul_f16_sdwa v8, v20, v8 dst_sel:DWORD dst_unused:UNUSED_PAD src0_sel:WORD_1 src1_sel:DWORD
	v_fma_f16 v3, v20, v3, -v8
	v_cndmask_b32_e32 v5, v12, v5, vcc
	v_and_b32_e32 v12, 7, v5
	v_cmp_lt_i32_e32 vcc, 5, v12
	v_cmp_eq_u32_e64 s[0:1], 3, v12
	v_lshrrev_b32_e32 v5, 2, v5
	s_or_b64 vcc, s[0:1], vcc
	v_addc_co_u32_e32 v5, vcc, 0, v5, vcc
	v_cmp_gt_i32_e32 vcc, 31, v10
	v_cvt_f32_f16_e32 v3, v3
	v_accvgpr_read_b32 v20, a24
	v_cndmask_b32_e32 v5, v18, v5, vcc
	v_cmp_ne_u32_e32 vcc, 0, v1
	s_nop 1
	v_cndmask_b32_e64 v1, 0, 1, vcc
	v_lshl_or_b32 v1, v1, 9, v18
	v_cmp_eq_u32_e32 vcc, s9, v10
	s_nop 1
	v_cndmask_b32_e32 v1, v5, v1, vcc
	v_and_b32_sdwa v5, v17, s10 dst_sel:DWORD dst_unused:UNUSED_PAD src0_sel:WORD_1 src1_sel:DWORD
	v_cvt_f64_f32_e32 v[16:17], v3
	v_mul_f64 v[16:17], v[16:17], s[2:3]
	v_and_or_b32 v3, v17, s7, v16
	v_cmp_ne_u32_e32 vcc, 0, v3
	v_lshrrev_b32_e32 v8, 8, v17
	v_bfe_u32 v10, v17, 20, 11
	v_cndmask_b32_e64 v3, 0, 1, vcc
	v_and_or_b32 v3, v8, s8, v3
	v_sub_u32_e32 v12, 0x3f1, v10
	v_or_b32_e32 v8, 0x1000, v3
	v_med3_i32 v12, v12, 0, 13
	v_lshrrev_b32_e32 v14, v12, v8
	v_lshlrev_b32_e32 v12, v12, v14
	v_cmp_ne_u32_e32 vcc, v12, v8
	v_add_u32_e32 v10, 0xfffffc10, v10
	v_lshl_or_b32 v12, v10, 12, v3
	v_cndmask_b32_e64 v8, 0, 1, vcc
	v_or_b32_e32 v8, v14, v8
	v_cmp_gt_i32_e32 vcc, 1, v10
	v_bitop3_b32 v1, v5, s6, v1 bitop3:0xc8
	v_accvgpr_read_b32 v14, a25
	v_cndmask_b32_e32 v8, v12, v8, vcc
	v_and_b32_e32 v12, 7, v8
	v_cmp_lt_i32_e32 vcc, 5, v12
	v_cmp_eq_u32_e64 s[0:1], 3, v12
	v_lshrrev_b32_e32 v8, 2, v8
	s_or_b64 vcc, s[0:1], vcc
	v_addc_co_u32_e32 v8, vcc, 0, v8, vcc
	v_cmp_gt_i32_e32 vcc, 31, v10
	v_mad_u64_u32 v[6:7], s[0:1], s4, v153, v[6:7]
	s_nop 0
	v_cndmask_b32_e32 v8, v18, v8, vcc
	v_cmp_ne_u32_e32 vcc, 0, v3
	v_add_u32_e32 v7, s11, v7
	s_nop 0
	v_cndmask_b32_e64 v3, 0, 1, vcc
	v_lshl_or_b32 v3, v3, 9, v18
	v_cmp_eq_u32_e32 vcc, s9, v10
	s_nop 1
	v_cndmask_b32_e32 v3, v8, v3, vcc
	v_lshrrev_b32_e32 v8, 16, v17
	v_and_or_b32 v3, v8, s10, v3
	v_lshl_or_b32 v1, v3, 16, v1
	v_lshrrev_b32_e32 v3, 16, v11
	v_accvgpr_read_b32 v8, a25
	v_mul_f16_sdwa v5, v8, v3 dst_sel:DWORD dst_unused:UNUSED_PAD src0_sel:WORD_1 src1_sel:DWORD
	v_fma_f16 v5, v8, v11, v5
	v_cvt_f32_f16_e32 v5, v5
	global_store_dword v[6:7], v1, off
	v_cvt_f64_f32_e32 v[16:17], v5
	v_mul_f64 v[16:17], v[16:17], s[2:3]
	v_and_or_b32 v1, v17, s7, v16
	v_cmp_ne_u32_e32 vcc, 0, v1
	v_lshrrev_b32_e32 v5, 8, v17
	v_bfe_u32 v8, v17, 20, 11
	v_cndmask_b32_e64 v1, 0, 1, vcc
	v_and_or_b32 v1, v5, s8, v1
	v_sub_u32_e32 v10, 0x3f1, v8
	v_or_b32_e32 v5, 0x1000, v1
	v_med3_i32 v10, v10, 0, 13
	v_lshrrev_b32_e32 v12, v10, v5
	v_lshlrev_b32_e32 v10, v10, v12
	v_cmp_ne_u32_e32 vcc, v10, v5
	v_add_u32_e32 v8, 0xfffffc10, v8
	v_lshl_or_b32 v10, v8, 12, v1
	v_cndmask_b32_e64 v5, 0, 1, vcc
	v_or_b32_e32 v5, v12, v5
	v_cmp_gt_i32_e32 vcc, 1, v8
	s_nop 1
	v_cndmask_b32_e32 v5, v10, v5, vcc
	v_and_b32_e32 v10, 7, v5
	v_cmp_lt_i32_e32 vcc, 5, v10
	v_cmp_eq_u32_e64 s[0:1], 3, v10
	v_mul_f16_sdwa v10, v14, v11 dst_sel:DWORD dst_unused:UNUSED_PAD src0_sel:WORD_1 src1_sel:DWORD
	v_lshrrev_b32_e32 v5, 2, v5
	s_or_b64 vcc, s[0:1], vcc
	v_fma_f16 v3, v14, v3, -v10
	v_addc_co_u32_e32 v5, vcc, 0, v5, vcc
	v_cvt_f32_f16_e32 v3, v3
	v_cmp_gt_i32_e32 vcc, 31, v8
	v_cvt_f64_f32_e32 v[10:11], v3
	s_nop 0
	v_cndmask_b32_e32 v5, v18, v5, vcc
	v_cmp_ne_u32_e32 vcc, 0, v1
	s_nop 1
	v_cndmask_b32_e64 v1, 0, 1, vcc
	v_lshl_or_b32 v1, v1, 9, v18
	v_cmp_eq_u32_e32 vcc, s9, v8
	s_nop 1
	v_cndmask_b32_e32 v1, v5, v1, vcc
	v_and_b32_sdwa v5, v17, s10 dst_sel:DWORD dst_unused:UNUSED_PAD src0_sel:WORD_1 src1_sel:DWORD
	v_mul_f64 v[16:17], v[10:11], s[2:3]
	v_and_or_b32 v3, v17, s7, v16
	v_cmp_ne_u32_e32 vcc, 0, v3
	v_lshrrev_b32_e32 v8, 8, v17
	v_bfe_u32 v10, v17, 20, 11
	v_cndmask_b32_e64 v3, 0, 1, vcc
	v_and_or_b32 v3, v8, s8, v3
	v_sub_u32_e32 v11, 0x3f1, v10
	v_or_b32_e32 v8, 0x1000, v3
	v_med3_i32 v11, v11, 0, 13
	v_lshrrev_b32_e32 v12, v11, v8
	v_lshlrev_b32_e32 v11, v11, v12
	v_cmp_ne_u32_e32 vcc, v11, v8
	v_add_u32_e32 v10, 0xfffffc10, v10
	v_lshl_or_b32 v11, v10, 12, v3
	v_cndmask_b32_e64 v8, 0, 1, vcc
	v_or_b32_e32 v8, v12, v8
	v_cmp_gt_i32_e32 vcc, 1, v10
	v_bitop3_b32 v1, v5, s6, v1 bitop3:0xc8
	s_nop 0
	v_cndmask_b32_e32 v8, v11, v8, vcc
	v_and_b32_e32 v11, 7, v8
	v_cmp_lt_i32_e32 vcc, 5, v11
	v_cmp_eq_u32_e64 s[0:1], 3, v11
	v_lshrrev_b32_e32 v8, 2, v8
	s_or_b64 vcc, s[0:1], vcc
	v_addc_co_u32_e32 v8, vcc, 0, v8, vcc
	v_cmp_gt_i32_e32 vcc, 31, v10
	v_mad_u64_u32 v[6:7], s[0:1], s4, v153, v[6:7]
	s_nop 0
	v_cndmask_b32_e32 v8, v18, v8, vcc
	v_cmp_ne_u32_e32 vcc, 0, v3
	v_add_u32_e32 v7, s11, v7
	s_nop 0
	v_cndmask_b32_e64 v3, 0, 1, vcc
	v_cmp_eq_u32_e32 vcc, s9, v10
	ds_read2_b32 v[10:11], v175 offset0:152 offset1:201
	v_lshl_or_b32 v3, v3, 9, v18
	v_cndmask_b32_e32 v3, v8, v3, vcc
	v_lshrrev_b32_e32 v8, 16, v17
	v_and_or_b32 v3, v8, s10, v3
	v_lshl_or_b32 v1, v3, 16, v1
	s_waitcnt lgkmcnt(0)
	v_lshrrev_b32_e32 v3, 16, v10
	v_accvgpr_read_b32 v8, a24
	v_mul_f16_sdwa v5, v8, v3 dst_sel:DWORD dst_unused:UNUSED_PAD src0_sel:WORD_1 src1_sel:DWORD
	v_fma_f16 v5, v8, v10, v5
	v_cvt_f32_f16_e32 v5, v5
	global_store_dword v[6:7], v1, off
	v_mul_f16_sdwa v10, v20, v10 dst_sel:DWORD dst_unused:UNUSED_PAD src0_sel:WORD_1 src1_sel:DWORD
	v_fma_f16 v3, v20, v3, -v10
	v_cvt_f64_f32_e32 v[16:17], v5
	v_mul_f64 v[16:17], v[16:17], s[2:3]
	v_and_or_b32 v1, v17, s7, v16
	v_cmp_ne_u32_e32 vcc, 0, v1
	v_lshrrev_b32_e32 v5, 8, v17
	v_bfe_u32 v8, v17, 20, 11
	v_cndmask_b32_e64 v1, 0, 1, vcc
	v_and_or_b32 v1, v5, s8, v1
	v_sub_u32_e32 v12, 0x3f1, v8
	v_or_b32_e32 v5, 0x1000, v1
	v_med3_i32 v12, v12, 0, 13
	v_lshrrev_b32_e32 v14, v12, v5
	v_lshlrev_b32_e32 v12, v12, v14
	v_cmp_ne_u32_e32 vcc, v12, v5
	v_add_u32_e32 v8, 0xfffffc10, v8
	v_lshl_or_b32 v12, v8, 12, v1
	v_cndmask_b32_e64 v5, 0, 1, vcc
	v_or_b32_e32 v5, v14, v5
	v_cmp_gt_i32_e32 vcc, 1, v8
	v_cvt_f32_f16_e32 v3, v3
	v_accvgpr_read_b32 v20, a22
	v_cndmask_b32_e32 v5, v12, v5, vcc
	v_and_b32_e32 v12, 7, v5
	v_cmp_lt_i32_e32 vcc, 5, v12
	v_cmp_eq_u32_e64 s[0:1], 3, v12
	v_lshrrev_b32_e32 v5, 2, v5
	s_or_b64 vcc, s[0:1], vcc
	v_addc_co_u32_e32 v5, vcc, 0, v5, vcc
	v_cmp_gt_i32_e32 vcc, 31, v8
	s_nop 1
	v_cndmask_b32_e32 v5, v18, v5, vcc
	v_cmp_ne_u32_e32 vcc, 0, v1
	s_nop 1
	v_cndmask_b32_e64 v1, 0, 1, vcc
	v_lshl_or_b32 v1, v1, 9, v18
	v_cmp_eq_u32_e32 vcc, s9, v8
	s_nop 1
	v_cndmask_b32_e32 v1, v5, v1, vcc
	v_and_b32_sdwa v5, v17, s10 dst_sel:DWORD dst_unused:UNUSED_PAD src0_sel:WORD_1 src1_sel:DWORD
	v_cvt_f64_f32_e32 v[16:17], v3
	v_mul_f64 v[16:17], v[16:17], s[2:3]
	v_and_or_b32 v3, v17, s7, v16
	v_cmp_ne_u32_e32 vcc, 0, v3
	v_lshrrev_b32_e32 v8, 8, v17
	v_bfe_u32 v10, v17, 20, 11
	v_cndmask_b32_e64 v3, 0, 1, vcc
	v_and_or_b32 v3, v8, s8, v3
	v_sub_u32_e32 v12, 0x3f1, v10
	v_or_b32_e32 v8, 0x1000, v3
	v_med3_i32 v12, v12, 0, 13
	v_lshrrev_b32_e32 v14, v12, v8
	v_lshlrev_b32_e32 v12, v12, v14
	v_cmp_ne_u32_e32 vcc, v12, v8
	v_add_u32_e32 v10, 0xfffffc10, v10
	v_lshl_or_b32 v12, v10, 12, v3
	v_cndmask_b32_e64 v8, 0, 1, vcc
	v_or_b32_e32 v8, v14, v8
	v_cmp_gt_i32_e32 vcc, 1, v10
	v_bitop3_b32 v1, v5, s6, v1 bitop3:0xc8
	v_accvgpr_read_b32 v14, a23
	v_cndmask_b32_e32 v8, v12, v8, vcc
	v_and_b32_e32 v12, 7, v8
	v_cmp_lt_i32_e32 vcc, 5, v12
	v_cmp_eq_u32_e64 s[0:1], 3, v12
	v_lshrrev_b32_e32 v8, 2, v8
	s_or_b64 vcc, s[0:1], vcc
	v_addc_co_u32_e32 v8, vcc, 0, v8, vcc
	v_cmp_gt_i32_e32 vcc, 31, v10
	v_mad_u64_u32 v[6:7], s[0:1], s4, v153, v[6:7]
	s_nop 0
	v_cndmask_b32_e32 v8, v18, v8, vcc
	v_cmp_ne_u32_e32 vcc, 0, v3
	v_add_u32_e32 v7, s11, v7
	s_nop 0
	v_cndmask_b32_e64 v3, 0, 1, vcc
	v_lshl_or_b32 v3, v3, 9, v18
	v_cmp_eq_u32_e32 vcc, s9, v10
	s_nop 1
	v_cndmask_b32_e32 v3, v8, v3, vcc
	v_lshrrev_b32_e32 v8, 16, v17
	v_and_or_b32 v3, v8, s10, v3
	v_lshl_or_b32 v1, v3, 16, v1
	v_lshrrev_b32_e32 v3, 16, v13
	v_accvgpr_read_b32 v8, a23
	v_mul_f16_sdwa v5, v8, v3 dst_sel:DWORD dst_unused:UNUSED_PAD src0_sel:WORD_1 src1_sel:DWORD
	v_fma_f16 v5, v8, v13, v5
	v_cvt_f32_f16_e32 v5, v5
	global_store_dword v[6:7], v1, off
	v_cvt_f64_f32_e32 v[16:17], v5
	v_mul_f64 v[16:17], v[16:17], s[2:3]
	v_and_or_b32 v1, v17, s7, v16
	v_cmp_ne_u32_e32 vcc, 0, v1
	v_lshrrev_b32_e32 v5, 8, v17
	v_bfe_u32 v8, v17, 20, 11
	v_cndmask_b32_e64 v1, 0, 1, vcc
	v_and_or_b32 v1, v5, s8, v1
	v_sub_u32_e32 v10, 0x3f1, v8
	v_or_b32_e32 v5, 0x1000, v1
	v_med3_i32 v10, v10, 0, 13
	v_lshrrev_b32_e32 v12, v10, v5
	v_lshlrev_b32_e32 v10, v10, v12
	v_cmp_ne_u32_e32 vcc, v10, v5
	v_add_u32_e32 v8, 0xfffffc10, v8
	v_lshl_or_b32 v10, v8, 12, v1
	v_cndmask_b32_e64 v5, 0, 1, vcc
	v_or_b32_e32 v5, v12, v5
	v_cmp_gt_i32_e32 vcc, 1, v8
	s_nop 1
	v_cndmask_b32_e32 v5, v10, v5, vcc
	v_and_b32_e32 v10, 7, v5
	v_cmp_lt_i32_e32 vcc, 5, v10
	v_cmp_eq_u32_e64 s[0:1], 3, v10
	v_mul_f16_sdwa v10, v14, v13 dst_sel:DWORD dst_unused:UNUSED_PAD src0_sel:WORD_1 src1_sel:DWORD
	v_lshrrev_b32_e32 v5, 2, v5
	s_or_b64 vcc, s[0:1], vcc
	v_fma_f16 v3, v14, v3, -v10
	v_addc_co_u32_e32 v5, vcc, 0, v5, vcc
	v_cvt_f32_f16_e32 v3, v3
	v_cmp_gt_i32_e32 vcc, 31, v8
	v_cvt_f64_f32_e32 v[12:13], v3
	s_nop 0
	v_cndmask_b32_e32 v5, v18, v5, vcc
	v_cmp_ne_u32_e32 vcc, 0, v1
	s_nop 1
	v_cndmask_b32_e64 v1, 0, 1, vcc
	v_lshl_or_b32 v1, v1, 9, v18
	v_cmp_eq_u32_e32 vcc, s9, v8
	s_nop 1
	v_cndmask_b32_e32 v1, v5, v1, vcc
	v_and_b32_sdwa v5, v17, s10 dst_sel:DWORD dst_unused:UNUSED_PAD src0_sel:WORD_1 src1_sel:DWORD
	v_mul_f64 v[16:17], v[12:13], s[2:3]
	v_and_or_b32 v3, v17, s7, v16
	v_cmp_ne_u32_e32 vcc, 0, v3
	v_lshrrev_b32_e32 v8, 8, v17
	v_bfe_u32 v10, v17, 20, 11
	v_cndmask_b32_e64 v3, 0, 1, vcc
	v_and_or_b32 v3, v8, s8, v3
	v_sub_u32_e32 v12, 0x3f1, v10
	v_or_b32_e32 v8, 0x1000, v3
	v_med3_i32 v12, v12, 0, 13
	v_lshrrev_b32_e32 v13, v12, v8
	v_lshlrev_b32_e32 v12, v12, v13
	v_cmp_ne_u32_e32 vcc, v12, v8
	v_add_u32_e32 v10, 0xfffffc10, v10
	v_lshl_or_b32 v12, v10, 12, v3
	v_cndmask_b32_e64 v8, 0, 1, vcc
	v_or_b32_e32 v8, v13, v8
	v_cmp_gt_i32_e32 vcc, 1, v10
	v_bitop3_b32 v1, v5, s6, v1 bitop3:0xc8
	s_nop 0
	v_cndmask_b32_e32 v8, v12, v8, vcc
	v_and_b32_e32 v12, 7, v8
	v_cmp_lt_i32_e32 vcc, 5, v12
	v_cmp_eq_u32_e64 s[0:1], 3, v12
	v_lshrrev_b32_e32 v8, 2, v8
	s_or_b64 vcc, s[0:1], vcc
	v_addc_co_u32_e32 v8, vcc, 0, v8, vcc
	v_cmp_gt_i32_e32 vcc, 31, v10
	ds_read2_b32 v[12:13], v191 offset0:70 offset1:119
	v_mad_u64_u32 v[6:7], s[0:1], s4, v153, v[6:7]
	v_cndmask_b32_e32 v8, v18, v8, vcc
	v_cmp_ne_u32_e32 vcc, 0, v3
	v_add_u32_e32 v7, s11, v7
	s_nop 0
	v_cndmask_b32_e64 v3, 0, 1, vcc
	v_lshl_or_b32 v3, v3, 9, v18
	v_cmp_eq_u32_e32 vcc, s9, v10
	s_nop 1
	v_cndmask_b32_e32 v3, v8, v3, vcc
	v_lshrrev_b32_e32 v8, 16, v17
	v_and_or_b32 v3, v8, s10, v3
	v_lshl_or_b32 v1, v3, 16, v1
	s_waitcnt lgkmcnt(0)
	v_lshrrev_b32_e32 v3, 16, v12
	v_accvgpr_read_b32 v8, a22
	v_mul_f16_sdwa v5, v8, v3 dst_sel:DWORD dst_unused:UNUSED_PAD src0_sel:WORD_1 src1_sel:DWORD
	v_fma_f16 v5, v8, v12, v5
	v_cvt_f32_f16_e32 v5, v5
	global_store_dword v[6:7], v1, off
	v_cvt_f64_f32_e32 v[16:17], v5
	v_mul_f64 v[16:17], v[16:17], s[2:3]
	v_and_or_b32 v1, v17, s7, v16
	v_cmp_ne_u32_e32 vcc, 0, v1
	v_lshrrev_b32_e32 v5, 8, v17
	v_bfe_u32 v8, v17, 20, 11
	v_cndmask_b32_e64 v1, 0, 1, vcc
	v_and_or_b32 v1, v5, s8, v1
	v_sub_u32_e32 v10, 0x3f1, v8
	v_or_b32_e32 v5, 0x1000, v1
	v_med3_i32 v10, v10, 0, 13
	v_lshrrev_b32_e32 v14, v10, v5
	v_lshlrev_b32_e32 v10, v10, v14
	v_cmp_ne_u32_e32 vcc, v10, v5
	v_add_u32_e32 v8, 0xfffffc10, v8
	v_lshl_or_b32 v10, v8, 12, v1
	v_cndmask_b32_e64 v5, 0, 1, vcc
	v_or_b32_e32 v5, v14, v5
	v_cmp_gt_i32_e32 vcc, 1, v8
	s_nop 1
	v_cndmask_b32_e32 v5, v10, v5, vcc
	v_and_b32_e32 v10, 7, v5
	v_cmp_lt_i32_e32 vcc, 5, v10
	v_cmp_eq_u32_e64 s[0:1], 3, v10
	v_lshrrev_b32_e32 v5, 2, v5
	s_or_b64 vcc, s[0:1], vcc
	v_mul_f16_sdwa v10, v20, v12 dst_sel:DWORD dst_unused:UNUSED_PAD src0_sel:WORD_1 src1_sel:DWORD
	v_addc_co_u32_e32 v5, vcc, 0, v5, vcc
	v_fma_f16 v3, v20, v3, -v10
	v_cmp_gt_i32_e32 vcc, 31, v8
	v_cvt_f32_f16_e32 v3, v3
	v_accvgpr_read_b32 v20, a20
	v_cndmask_b32_e32 v5, v18, v5, vcc
	v_cmp_ne_u32_e32 vcc, 0, v1
	s_nop 1
	v_cndmask_b32_e64 v1, 0, 1, vcc
	v_lshl_or_b32 v1, v1, 9, v18
	v_cmp_eq_u32_e32 vcc, s9, v8
	s_nop 1
	v_cndmask_b32_e32 v1, v5, v1, vcc
	v_and_b32_sdwa v5, v17, s10 dst_sel:DWORD dst_unused:UNUSED_PAD src0_sel:WORD_1 src1_sel:DWORD
	v_cvt_f64_f32_e32 v[16:17], v3
	v_mul_f64 v[16:17], v[16:17], s[2:3]
	v_and_or_b32 v3, v17, s7, v16
	v_cmp_ne_u32_e32 vcc, 0, v3
	v_lshrrev_b32_e32 v8, 8, v17
	v_bfe_u32 v10, v17, 20, 11
	v_cndmask_b32_e64 v3, 0, 1, vcc
	v_and_or_b32 v3, v8, s8, v3
	v_sub_u32_e32 v12, 0x3f1, v10
	v_or_b32_e32 v8, 0x1000, v3
	v_med3_i32 v12, v12, 0, 13
	v_lshrrev_b32_e32 v14, v12, v8
	v_lshlrev_b32_e32 v12, v12, v14
	v_cmp_ne_u32_e32 vcc, v12, v8
	v_add_u32_e32 v10, 0xfffffc10, v10
	v_lshl_or_b32 v12, v10, 12, v3
	v_cndmask_b32_e64 v8, 0, 1, vcc
	v_or_b32_e32 v8, v14, v8
	v_cmp_gt_i32_e32 vcc, 1, v10
	v_bitop3_b32 v1, v5, s6, v1 bitop3:0xc8
	s_nop 0
	v_cndmask_b32_e32 v8, v12, v8, vcc
	v_and_b32_e32 v12, 7, v8
	v_cmp_lt_i32_e32 vcc, 5, v12
	v_cmp_eq_u32_e64 s[0:1], 3, v12
	v_lshrrev_b32_e32 v8, 2, v8
	s_or_b64 vcc, s[0:1], vcc
	v_addc_co_u32_e32 v8, vcc, 0, v8, vcc
	v_cmp_gt_i32_e32 vcc, 31, v10
	v_accvgpr_read_b32 v12, a21
	s_nop 0
	v_cndmask_b32_e32 v8, v18, v8, vcc
	v_cmp_ne_u32_e32 vcc, 0, v3
	s_nop 1
	v_cndmask_b32_e64 v3, 0, 1, vcc
	v_lshl_or_b32 v3, v3, 9, v18
	v_cmp_eq_u32_e32 vcc, s9, v10
	s_nop 1
	v_cndmask_b32_e32 v3, v8, v3, vcc
	v_lshrrev_b32_e32 v8, 16, v17
	v_and_or_b32 v3, v8, s10, v3
	v_lshl_or_b32 v1, v3, 16, v1
	v_lshrrev_b32_e32 v3, 16, v15
	v_accvgpr_read_b32 v8, a21
	v_mul_f16_sdwa v5, v8, v3 dst_sel:DWORD dst_unused:UNUSED_PAD src0_sel:WORD_1 src1_sel:DWORD
	v_fma_f16 v5, v8, v15, v5
	v_cvt_f32_f16_e32 v5, v5
	v_mad_u64_u32 v[16:17], s[0:1], s4, v153, v[6:7]
	v_add_u32_e32 v17, s11, v17
	v_cvt_f64_f32_e32 v[6:7], v5
	v_mul_f64 v[6:7], v[6:7], s[2:3]
	global_store_dword v[16:17], v1, off
	v_and_or_b32 v1, v7, s7, v6
	v_cmp_ne_u32_e32 vcc, 0, v1
	v_lshrrev_b32_e32 v5, 8, v7
	v_bfe_u32 v6, v7, 20, 11
	v_cndmask_b32_e64 v1, 0, 1, vcc
	v_and_or_b32 v1, v5, s8, v1
	v_sub_u32_e32 v8, 0x3f1, v6
	v_or_b32_e32 v5, 0x1000, v1
	v_med3_i32 v8, v8, 0, 13
	v_lshrrev_b32_e32 v10, v8, v5
	v_lshlrev_b32_e32 v8, v8, v10
	v_cmp_ne_u32_e32 vcc, v8, v5
	v_add_u32_e32 v6, 0xfffffc10, v6
	v_lshl_or_b32 v8, v6, 12, v1
	v_cndmask_b32_e64 v5, 0, 1, vcc
	v_or_b32_e32 v5, v10, v5
	v_cmp_gt_i32_e32 vcc, 1, v6
	s_nop 1
	v_cndmask_b32_e32 v5, v8, v5, vcc
	v_and_b32_e32 v8, 7, v5
	v_cmp_lt_i32_e32 vcc, 5, v8
	v_cmp_eq_u32_e64 s[0:1], 3, v8
	v_lshrrev_b32_e32 v5, 2, v5
	s_or_b64 vcc, s[0:1], vcc
	v_mul_f16_sdwa v8, v12, v15 dst_sel:DWORD dst_unused:UNUSED_PAD src0_sel:WORD_1 src1_sel:DWORD
	v_addc_co_u32_e32 v5, vcc, 0, v5, vcc
	v_fma_f16 v3, v12, v3, -v8
	v_cmp_gt_i32_e32 vcc, 31, v6
	v_cvt_f32_f16_e32 v3, v3
	s_nop 0
	v_cndmask_b32_e32 v5, v18, v5, vcc
	v_cmp_ne_u32_e32 vcc, 0, v1
	s_nop 1
	v_cndmask_b32_e64 v1, 0, 1, vcc
	v_lshl_or_b32 v1, v1, 9, v18
	v_cmp_eq_u32_e32 vcc, s9, v6
	s_nop 1
	v_cndmask_b32_e32 v1, v5, v1, vcc
	v_and_b32_sdwa v5, v7, s10 dst_sel:DWORD dst_unused:UNUSED_PAD src0_sel:WORD_1 src1_sel:DWORD
	v_cvt_f64_f32_e32 v[6:7], v3
	v_mul_f64 v[14:15], v[6:7], s[2:3]
	v_and_or_b32 v3, v15, s7, v14
	v_cmp_ne_u32_e32 vcc, 0, v3
	v_lshrrev_b32_e32 v6, 8, v15
	v_bfe_u32 v7, v15, 20, 11
	v_cndmask_b32_e64 v3, 0, 1, vcc
	v_and_or_b32 v3, v6, s8, v3
	v_sub_u32_e32 v8, 0x3f1, v7
	v_or_b32_e32 v6, 0x1000, v3
	v_med3_i32 v8, v8, 0, 13
	v_lshrrev_b32_e32 v10, v8, v6
	v_lshlrev_b32_e32 v8, v8, v10
	v_cmp_ne_u32_e32 vcc, v8, v6
	v_add_u32_e32 v7, 0xfffffc10, v7
	v_lshl_or_b32 v8, v7, 12, v3
	v_cndmask_b32_e64 v6, 0, 1, vcc
	v_or_b32_e32 v6, v10, v6
	v_cmp_gt_i32_e32 vcc, 1, v7
	v_bitop3_b32 v1, v5, s6, v1 bitop3:0xc8
	s_nop 0
	v_cndmask_b32_e32 v6, v8, v6, vcc
	v_and_b32_e32 v8, 7, v6
	v_cmp_lt_i32_e32 vcc, 5, v8
	v_cmp_eq_u32_e64 s[0:1], 3, v8
	v_lshrrev_b32_e32 v6, 2, v6
	s_or_b64 vcc, s[0:1], vcc
	v_addc_co_u32_e32 v6, vcc, 0, v6, vcc
	v_cmp_gt_i32_e32 vcc, 31, v7
	v_lshrrev_b32_e32 v8, 16, v15
	v_mad_u64_u32 v[14:15], s[0:1], s4, v153, v[16:17]
	v_cndmask_b32_e32 v6, v18, v6, vcc
	v_cmp_ne_u32_e32 vcc, 0, v3
	v_add_u32_e32 v15, s11, v15
	s_nop 0
	v_cndmask_b32_e64 v3, 0, 1, vcc
	v_lshl_or_b32 v3, v3, 9, v18
	v_cmp_eq_u32_e32 vcc, s9, v7
	s_nop 1
	v_cndmask_b32_e32 v3, v6, v3, vcc
	ds_read2_b32 v[6:7], v132 offset0:196 offset1:245
	v_and_or_b32 v3, v8, s10, v3
	v_lshl_or_b32 v1, v3, 16, v1
	v_accvgpr_read_b32 v8, a20
	global_store_dword v[14:15], v1, off
	s_waitcnt lgkmcnt(0)
	v_lshrrev_b32_e32 v3, 16, v6
	v_mul_f16_sdwa v5, v8, v3 dst_sel:DWORD dst_unused:UNUSED_PAD src0_sel:WORD_1 src1_sel:DWORD
	v_fma_f16 v5, v8, v6, v5
	v_cvt_f32_f16_e32 v5, v5
	v_mul_f16_sdwa v6, v20, v6 dst_sel:DWORD dst_unused:UNUSED_PAD src0_sel:WORD_1 src1_sel:DWORD
	v_fma_f16 v3, v20, v3, -v6
	v_cvt_f32_f16_e32 v3, v3
	v_cvt_f64_f32_e32 v[16:17], v5
	v_mul_f64 v[16:17], v[16:17], s[2:3]
	v_and_or_b32 v1, v17, s7, v16
	v_cmp_ne_u32_e32 vcc, 0, v1
	v_lshrrev_b32_e32 v5, 8, v17
	v_bfe_u32 v8, v17, 20, 11
	v_cndmask_b32_e64 v1, 0, 1, vcc
	v_and_or_b32 v1, v5, s8, v1
	v_sub_u32_e32 v10, 0x3f1, v8
	v_or_b32_e32 v5, 0x1000, v1
	v_med3_i32 v10, v10, 0, 13
	v_lshrrev_b32_e32 v12, v10, v5
	v_lshlrev_b32_e32 v10, v10, v12
	v_cmp_ne_u32_e32 vcc, v10, v5
	v_add_u32_e32 v8, 0xfffffc10, v8
	v_lshl_or_b32 v10, v8, 12, v1
	v_cndmask_b32_e64 v5, 0, 1, vcc
	v_or_b32_e32 v5, v12, v5
	v_cmp_gt_i32_e32 vcc, 1, v8
	v_accvgpr_read_b32 v20, a18
	s_nop 0
	v_cndmask_b32_e32 v5, v10, v5, vcc
	v_and_b32_e32 v10, 7, v5
	v_cmp_lt_i32_e32 vcc, 5, v10
	v_cmp_eq_u32_e64 s[0:1], 3, v10
	v_lshrrev_b32_e32 v5, 2, v5
	s_or_b64 vcc, s[0:1], vcc
	v_addc_co_u32_e32 v5, vcc, 0, v5, vcc
	v_cmp_gt_i32_e32 vcc, 31, v8
	s_nop 1
	v_cndmask_b32_e32 v5, v18, v5, vcc
	v_cmp_ne_u32_e32 vcc, 0, v1
	s_nop 1
	v_cndmask_b32_e64 v1, 0, 1, vcc
	v_lshl_or_b32 v1, v1, 9, v18
	v_cmp_eq_u32_e32 vcc, s9, v8
	s_nop 1
	v_cndmask_b32_e32 v1, v5, v1, vcc
	v_and_b32_sdwa v5, v17, s10 dst_sel:DWORD dst_unused:UNUSED_PAD src0_sel:WORD_1 src1_sel:DWORD
	v_cvt_f64_f32_e32 v[16:17], v3
	v_mul_f64 v[16:17], v[16:17], s[2:3]
	v_and_or_b32 v3, v17, s7, v16
	v_cmp_ne_u32_e32 vcc, 0, v3
	v_lshrrev_b32_e32 v6, 8, v17
	v_bfe_u32 v8, v17, 20, 11
	v_cndmask_b32_e64 v3, 0, 1, vcc
	v_and_or_b32 v3, v6, s8, v3
	v_sub_u32_e32 v10, 0x3f1, v8
	v_or_b32_e32 v6, 0x1000, v3
	v_med3_i32 v10, v10, 0, 13
	v_lshrrev_b32_e32 v12, v10, v6
	v_lshlrev_b32_e32 v10, v10, v12
	v_cmp_ne_u32_e32 vcc, v10, v6
	v_add_u32_e32 v8, 0xfffffc10, v8
	v_lshl_or_b32 v10, v8, 12, v3
	v_cndmask_b32_e64 v6, 0, 1, vcc
	v_or_b32_e32 v6, v12, v6
	v_cmp_gt_i32_e32 vcc, 1, v8
	v_bitop3_b32 v1, v5, s6, v1 bitop3:0xc8
	v_accvgpr_read_b32 v12, a19
	v_cndmask_b32_e32 v6, v10, v6, vcc
	v_and_b32_e32 v10, 7, v6
	v_cmp_lt_i32_e32 vcc, 5, v10
	v_cmp_eq_u32_e64 s[0:1], 3, v10
	v_lshrrev_b32_e32 v6, 2, v6
	s_or_b64 vcc, s[0:1], vcc
	v_addc_co_u32_e32 v6, vcc, 0, v6, vcc
	v_cmp_gt_i32_e32 vcc, 31, v8
	v_mad_u64_u32 v[14:15], s[0:1], s4, v19, v[14:15]
	s_nop 0
	v_cndmask_b32_e32 v6, v18, v6, vcc
	v_cmp_ne_u32_e32 vcc, 0, v3
	v_add_u32_e32 v15, s5, v15
	s_nop 0
	v_cndmask_b32_e64 v3, 0, 1, vcc
	v_lshl_or_b32 v3, v3, 9, v18
	v_cmp_eq_u32_e32 vcc, s9, v8
	s_nop 1
	v_cndmask_b32_e32 v3, v6, v3, vcc
	v_lshrrev_b32_e32 v6, 16, v17
	v_and_or_b32 v3, v6, s10, v3
	v_lshl_or_b32 v1, v3, 16, v1
	v_lshrrev_b32_e32 v3, 16, v9
	v_accvgpr_read_b32 v6, a19
	v_mul_f16_sdwa v5, v6, v3 dst_sel:DWORD dst_unused:UNUSED_PAD src0_sel:WORD_1 src1_sel:DWORD
	v_fma_f16 v5, v6, v9, v5
	v_cvt_f32_f16_e32 v5, v5
	global_store_dword v[14:15], v1, off
	v_cvt_f64_f32_e32 v[16:17], v5
	v_mul_f64 v[16:17], v[16:17], s[2:3]
	v_and_or_b32 v1, v17, s7, v16
	v_cmp_ne_u32_e32 vcc, 0, v1
	v_lshrrev_b32_e32 v5, 8, v17
	v_bfe_u32 v6, v17, 20, 11
	v_cndmask_b32_e64 v1, 0, 1, vcc
	v_and_or_b32 v1, v5, s8, v1
	v_sub_u32_e32 v8, 0x3f1, v6
	v_or_b32_e32 v5, 0x1000, v1
	v_med3_i32 v8, v8, 0, 13
	v_lshrrev_b32_e32 v10, v8, v5
	v_lshlrev_b32_e32 v8, v8, v10
	v_cmp_ne_u32_e32 vcc, v8, v5
	v_add_u32_e32 v6, 0xfffffc10, v6
	v_lshl_or_b32 v8, v6, 12, v1
	v_cndmask_b32_e64 v5, 0, 1, vcc
	v_or_b32_e32 v5, v10, v5
	v_cmp_gt_i32_e32 vcc, 1, v6
	s_nop 1
	v_cndmask_b32_e32 v5, v8, v5, vcc
	v_and_b32_e32 v8, 7, v5
	v_cmp_lt_i32_e32 vcc, 5, v8
	v_cmp_eq_u32_e64 s[0:1], 3, v8
	v_mul_f16_sdwa v8, v12, v9 dst_sel:DWORD dst_unused:UNUSED_PAD src0_sel:WORD_1 src1_sel:DWORD
	v_lshrrev_b32_e32 v5, 2, v5
	s_or_b64 vcc, s[0:1], vcc
	v_fma_f16 v3, v12, v3, -v8
	v_addc_co_u32_e32 v5, vcc, 0, v5, vcc
	v_cvt_f32_f16_e32 v3, v3
	v_cmp_gt_i32_e32 vcc, 31, v6
	v_cvt_f64_f32_e32 v[8:9], v3
	s_nop 0
	v_cndmask_b32_e32 v5, v18, v5, vcc
	v_cmp_ne_u32_e32 vcc, 0, v1
	s_nop 1
	v_cndmask_b32_e64 v1, 0, 1, vcc
	v_lshl_or_b32 v1, v1, 9, v18
	v_cmp_eq_u32_e32 vcc, s9, v6
	s_nop 1
	v_cndmask_b32_e32 v1, v5, v1, vcc
	v_and_b32_sdwa v5, v17, s10 dst_sel:DWORD dst_unused:UNUSED_PAD src0_sel:WORD_1 src1_sel:DWORD
	v_mul_f64 v[16:17], v[8:9], s[2:3]
	v_and_or_b32 v3, v17, s7, v16
	v_cmp_ne_u32_e32 vcc, 0, v3
	v_lshrrev_b32_e32 v6, 8, v17
	v_bfe_u32 v8, v17, 20, 11
	v_cndmask_b32_e64 v3, 0, 1, vcc
	v_and_or_b32 v3, v6, s8, v3
	v_sub_u32_e32 v9, 0x3f1, v8
	v_or_b32_e32 v6, 0x1000, v3
	v_med3_i32 v9, v9, 0, 13
	v_lshrrev_b32_e32 v10, v9, v6
	v_lshlrev_b32_e32 v9, v9, v10
	v_cmp_ne_u32_e32 vcc, v9, v6
	v_add_u32_e32 v8, 0xfffffc10, v8
	v_lshl_or_b32 v9, v8, 12, v3
	v_cndmask_b32_e64 v6, 0, 1, vcc
	v_or_b32_e32 v6, v10, v6
	v_cmp_gt_i32_e32 vcc, 1, v8
	v_bitop3_b32 v1, v5, s6, v1 bitop3:0xc8
	s_nop 0
	v_cndmask_b32_e32 v6, v9, v6, vcc
	v_and_b32_e32 v9, 7, v6
	v_cmp_lt_i32_e32 vcc, 5, v9
	v_cmp_eq_u32_e64 s[0:1], 3, v9
	v_lshrrev_b32_e32 v6, 2, v6
	s_or_b64 vcc, s[0:1], vcc
	v_addc_co_u32_e32 v6, vcc, 0, v6, vcc
	v_cmp_gt_i32_e32 vcc, 31, v8
	v_mad_u64_u32 v[14:15], s[0:1], s4, v153, v[14:15]
	s_nop 0
	v_cndmask_b32_e32 v6, v18, v6, vcc
	v_cmp_ne_u32_e32 vcc, 0, v3
	v_add_u32_e32 v15, s11, v15
	s_nop 0
	v_cndmask_b32_e64 v3, 0, 1, vcc
	v_cmp_eq_u32_e32 vcc, s9, v8
	ds_read2_b32 v[8:9], v161 offset0:114 offset1:163
	v_lshl_or_b32 v3, v3, 9, v18
	v_cndmask_b32_e32 v3, v6, v3, vcc
	v_lshrrev_b32_e32 v6, 16, v17
	v_and_or_b32 v3, v6, s10, v3
	v_lshl_or_b32 v1, v3, 16, v1
	s_waitcnt lgkmcnt(0)
	v_lshrrev_b32_e32 v3, 16, v8
	v_accvgpr_read_b32 v6, a18
	v_mul_f16_sdwa v5, v6, v3 dst_sel:DWORD dst_unused:UNUSED_PAD src0_sel:WORD_1 src1_sel:DWORD
	v_fma_f16 v5, v6, v8, v5
	v_cvt_f32_f16_e32 v5, v5
	global_store_dword v[14:15], v1, off
	v_mul_f16_sdwa v8, v20, v8 dst_sel:DWORD dst_unused:UNUSED_PAD src0_sel:WORD_1 src1_sel:DWORD
	v_fma_f16 v3, v20, v3, -v8
	v_cvt_f64_f32_e32 v[16:17], v5
	v_mul_f64 v[16:17], v[16:17], s[2:3]
	v_and_or_b32 v1, v17, s7, v16
	v_cmp_ne_u32_e32 vcc, 0, v1
	v_lshrrev_b32_e32 v5, 8, v17
	v_bfe_u32 v6, v17, 20, 11
	v_cndmask_b32_e64 v1, 0, 1, vcc
	v_and_or_b32 v1, v5, s8, v1
	v_sub_u32_e32 v10, 0x3f1, v6
	v_or_b32_e32 v5, 0x1000, v1
	v_med3_i32 v10, v10, 0, 13
	v_lshrrev_b32_e32 v12, v10, v5
	v_lshlrev_b32_e32 v10, v10, v12
	v_cmp_ne_u32_e32 vcc, v10, v5
	v_add_u32_e32 v6, 0xfffffc10, v6
	v_lshl_or_b32 v10, v6, 12, v1
	v_cndmask_b32_e64 v5, 0, 1, vcc
	v_or_b32_e32 v5, v12, v5
	v_cmp_gt_i32_e32 vcc, 1, v6
	v_cvt_f32_f16_e32 v3, v3
	v_accvgpr_read_b32 v20, a16
	v_cndmask_b32_e32 v5, v10, v5, vcc
	v_and_b32_e32 v10, 7, v5
	v_cmp_lt_i32_e32 vcc, 5, v10
	v_cmp_eq_u32_e64 s[0:1], 3, v10
	v_lshrrev_b32_e32 v5, 2, v5
	s_or_b64 vcc, s[0:1], vcc
	v_addc_co_u32_e32 v5, vcc, 0, v5, vcc
	v_cmp_gt_i32_e32 vcc, 31, v6
	s_nop 1
	v_cndmask_b32_e32 v5, v18, v5, vcc
	v_cmp_ne_u32_e32 vcc, 0, v1
	s_nop 1
	v_cndmask_b32_e64 v1, 0, 1, vcc
	v_lshl_or_b32 v1, v1, 9, v18
	v_cmp_eq_u32_e32 vcc, s9, v6
	s_nop 1
	v_cndmask_b32_e32 v1, v5, v1, vcc
	v_and_b32_sdwa v5, v17, s10 dst_sel:DWORD dst_unused:UNUSED_PAD src0_sel:WORD_1 src1_sel:DWORD
	v_cvt_f64_f32_e32 v[16:17], v3
	v_mul_f64 v[16:17], v[16:17], s[2:3]
	v_and_or_b32 v3, v17, s7, v16
	v_cmp_ne_u32_e32 vcc, 0, v3
	v_lshrrev_b32_e32 v6, 8, v17
	v_bfe_u32 v8, v17, 20, 11
	v_cndmask_b32_e64 v3, 0, 1, vcc
	v_and_or_b32 v3, v6, s8, v3
	v_sub_u32_e32 v10, 0x3f1, v8
	v_or_b32_e32 v6, 0x1000, v3
	v_med3_i32 v10, v10, 0, 13
	v_lshrrev_b32_e32 v12, v10, v6
	v_lshlrev_b32_e32 v10, v10, v12
	v_cmp_ne_u32_e32 vcc, v10, v6
	v_add_u32_e32 v8, 0xfffffc10, v8
	v_lshl_or_b32 v10, v8, 12, v3
	v_cndmask_b32_e64 v6, 0, 1, vcc
	v_or_b32_e32 v6, v12, v6
	v_cmp_gt_i32_e32 vcc, 1, v8
	v_bitop3_b32 v1, v5, s6, v1 bitop3:0xc8
	v_accvgpr_read_b32 v12, a17
	v_cndmask_b32_e32 v6, v10, v6, vcc
	v_and_b32_e32 v10, 7, v6
	v_cmp_lt_i32_e32 vcc, 5, v10
	v_cmp_eq_u32_e64 s[0:1], 3, v10
	v_lshrrev_b32_e32 v6, 2, v6
	s_or_b64 vcc, s[0:1], vcc
	v_addc_co_u32_e32 v6, vcc, 0, v6, vcc
	v_cmp_gt_i32_e32 vcc, 31, v8
	v_mad_u64_u32 v[14:15], s[0:1], s4, v153, v[14:15]
	s_nop 0
	v_cndmask_b32_e32 v6, v18, v6, vcc
	v_cmp_ne_u32_e32 vcc, 0, v3
	v_add_u32_e32 v15, s11, v15
	s_nop 0
	v_cndmask_b32_e64 v3, 0, 1, vcc
	v_lshl_or_b32 v3, v3, 9, v18
	v_cmp_eq_u32_e32 vcc, s9, v8
	s_nop 1
	v_cndmask_b32_e32 v3, v6, v3, vcc
	v_lshrrev_b32_e32 v6, 16, v17
	v_and_or_b32 v3, v6, s10, v3
	v_lshl_or_b32 v1, v3, 16, v1
	v_lshrrev_b32_e32 v3, 16, v11
	v_accvgpr_read_b32 v6, a17
	v_mul_f16_sdwa v5, v6, v3 dst_sel:DWORD dst_unused:UNUSED_PAD src0_sel:WORD_1 src1_sel:DWORD
	v_fma_f16 v5, v6, v11, v5
	v_cvt_f32_f16_e32 v5, v5
	global_store_dword v[14:15], v1, off
	v_cvt_f64_f32_e32 v[16:17], v5
	v_mul_f64 v[16:17], v[16:17], s[2:3]
	v_and_or_b32 v1, v17, s7, v16
	v_cmp_ne_u32_e32 vcc, 0, v1
	v_lshrrev_b32_e32 v5, 8, v17
	v_bfe_u32 v6, v17, 20, 11
	v_cndmask_b32_e64 v1, 0, 1, vcc
	v_and_or_b32 v1, v5, s8, v1
	v_sub_u32_e32 v8, 0x3f1, v6
	v_or_b32_e32 v5, 0x1000, v1
	v_med3_i32 v8, v8, 0, 13
	v_lshrrev_b32_e32 v10, v8, v5
	v_lshlrev_b32_e32 v8, v8, v10
	v_cmp_ne_u32_e32 vcc, v8, v5
	v_add_u32_e32 v6, 0xfffffc10, v6
	v_lshl_or_b32 v8, v6, 12, v1
	v_cndmask_b32_e64 v5, 0, 1, vcc
	v_or_b32_e32 v5, v10, v5
	v_cmp_gt_i32_e32 vcc, 1, v6
	s_nop 1
	v_cndmask_b32_e32 v5, v8, v5, vcc
	v_and_b32_e32 v8, 7, v5
	v_cmp_lt_i32_e32 vcc, 5, v8
	v_cmp_eq_u32_e64 s[0:1], 3, v8
	v_mul_f16_sdwa v8, v12, v11 dst_sel:DWORD dst_unused:UNUSED_PAD src0_sel:WORD_1 src1_sel:DWORD
	v_lshrrev_b32_e32 v5, 2, v5
	s_or_b64 vcc, s[0:1], vcc
	v_fma_f16 v3, v12, v3, -v8
	v_addc_co_u32_e32 v5, vcc, 0, v5, vcc
	v_cvt_f32_f16_e32 v3, v3
	v_cmp_gt_i32_e32 vcc, 31, v6
	v_cvt_f64_f32_e32 v[10:11], v3
	s_nop 0
	v_cndmask_b32_e32 v5, v18, v5, vcc
	v_cmp_ne_u32_e32 vcc, 0, v1
	s_nop 1
	v_cndmask_b32_e64 v1, 0, 1, vcc
	v_lshl_or_b32 v1, v1, 9, v18
	v_cmp_eq_u32_e32 vcc, s9, v6
	s_nop 1
	v_cndmask_b32_e32 v1, v5, v1, vcc
	v_and_b32_sdwa v5, v17, s10 dst_sel:DWORD dst_unused:UNUSED_PAD src0_sel:WORD_1 src1_sel:DWORD
	v_mul_f64 v[16:17], v[10:11], s[2:3]
	v_and_or_b32 v3, v17, s7, v16
	v_cmp_ne_u32_e32 vcc, 0, v3
	v_lshrrev_b32_e32 v6, 8, v17
	v_bfe_u32 v8, v17, 20, 11
	v_cndmask_b32_e64 v3, 0, 1, vcc
	v_and_or_b32 v3, v6, s8, v3
	v_sub_u32_e32 v10, 0x3f1, v8
	v_or_b32_e32 v6, 0x1000, v3
	v_med3_i32 v10, v10, 0, 13
	v_lshrrev_b32_e32 v11, v10, v6
	v_lshlrev_b32_e32 v10, v10, v11
	v_cmp_ne_u32_e32 vcc, v10, v6
	v_add_u32_e32 v8, 0xfffffc10, v8
	v_lshl_or_b32 v10, v8, 12, v3
	v_cndmask_b32_e64 v6, 0, 1, vcc
	v_or_b32_e32 v6, v11, v6
	v_cmp_gt_i32_e32 vcc, 1, v8
	v_bitop3_b32 v1, v5, s6, v1 bitop3:0xc8
	s_nop 0
	v_cndmask_b32_e32 v6, v10, v6, vcc
	v_and_b32_e32 v10, 7, v6
	v_cmp_lt_i32_e32 vcc, 5, v10
	v_cmp_eq_u32_e64 s[0:1], 3, v10
	v_lshrrev_b32_e32 v6, 2, v6
	s_or_b64 vcc, s[0:1], vcc
	v_addc_co_u32_e32 v6, vcc, 0, v6, vcc
	v_cmp_gt_i32_e32 vcc, 31, v8
	ds_read2_b32 v[10:11], v165 offset0:32 offset1:81
	v_mad_u64_u32 v[14:15], s[0:1], s4, v153, v[14:15]
	v_cndmask_b32_e32 v6, v18, v6, vcc
	v_cmp_ne_u32_e32 vcc, 0, v3
	v_add_u32_e32 v15, s11, v15
	s_nop 0
	v_cndmask_b32_e64 v3, 0, 1, vcc
	v_lshl_or_b32 v3, v3, 9, v18
	v_cmp_eq_u32_e32 vcc, s9, v8
	s_nop 1
	v_cndmask_b32_e32 v3, v6, v3, vcc
	v_lshrrev_b32_e32 v6, 16, v17
	v_and_or_b32 v3, v6, s10, v3
	v_lshl_or_b32 v1, v3, 16, v1
	s_waitcnt lgkmcnt(0)
	v_lshrrev_b32_e32 v3, 16, v10
	v_accvgpr_read_b32 v6, a16
	v_mul_f16_sdwa v5, v6, v3 dst_sel:DWORD dst_unused:UNUSED_PAD src0_sel:WORD_1 src1_sel:DWORD
	v_fma_f16 v5, v6, v10, v5
	v_cvt_f32_f16_e32 v5, v5
	global_store_dword v[14:15], v1, off
	v_cvt_f64_f32_e32 v[16:17], v5
	v_mul_f64 v[16:17], v[16:17], s[2:3]
	v_and_or_b32 v1, v17, s7, v16
	v_cmp_ne_u32_e32 vcc, 0, v1
	v_lshrrev_b32_e32 v5, 8, v17
	v_bfe_u32 v6, v17, 20, 11
	v_cndmask_b32_e64 v1, 0, 1, vcc
	v_and_or_b32 v1, v5, s8, v1
	v_sub_u32_e32 v8, 0x3f1, v6
	v_or_b32_e32 v5, 0x1000, v1
	v_med3_i32 v8, v8, 0, 13
	v_lshrrev_b32_e32 v12, v8, v5
	v_lshlrev_b32_e32 v8, v8, v12
	v_cmp_ne_u32_e32 vcc, v8, v5
	v_add_u32_e32 v6, 0xfffffc10, v6
	v_lshl_or_b32 v8, v6, 12, v1
	v_cndmask_b32_e64 v5, 0, 1, vcc
	v_or_b32_e32 v5, v12, v5
	v_cmp_gt_i32_e32 vcc, 1, v6
	s_nop 1
	v_cndmask_b32_e32 v5, v8, v5, vcc
	v_and_b32_e32 v8, 7, v5
	v_cmp_lt_i32_e32 vcc, 5, v8
	v_cmp_eq_u32_e64 s[0:1], 3, v8
	v_lshrrev_b32_e32 v5, 2, v5
	s_or_b64 vcc, s[0:1], vcc
	v_mul_f16_sdwa v8, v20, v10 dst_sel:DWORD dst_unused:UNUSED_PAD src0_sel:WORD_1 src1_sel:DWORD
	v_addc_co_u32_e32 v5, vcc, 0, v5, vcc
	v_fma_f16 v3, v20, v3, -v8
	v_cmp_gt_i32_e32 vcc, 31, v6
	v_cvt_f32_f16_e32 v3, v3
	v_accvgpr_read_b32 v20, a14
	v_cndmask_b32_e32 v5, v18, v5, vcc
	v_cmp_ne_u32_e32 vcc, 0, v1
	s_nop 1
	v_cndmask_b32_e64 v1, 0, 1, vcc
	v_lshl_or_b32 v1, v1, 9, v18
	v_cmp_eq_u32_e32 vcc, s9, v6
	s_nop 1
	v_cndmask_b32_e32 v1, v5, v1, vcc
	v_and_b32_sdwa v5, v17, s10 dst_sel:DWORD dst_unused:UNUSED_PAD src0_sel:WORD_1 src1_sel:DWORD
	v_cvt_f64_f32_e32 v[16:17], v3
	v_mul_f64 v[16:17], v[16:17], s[2:3]
	v_and_or_b32 v3, v17, s7, v16
	v_cmp_ne_u32_e32 vcc, 0, v3
	v_lshrrev_b32_e32 v6, 8, v17
	v_bfe_u32 v8, v17, 20, 11
	v_cndmask_b32_e64 v3, 0, 1, vcc
	v_and_or_b32 v3, v6, s8, v3
	v_sub_u32_e32 v10, 0x3f1, v8
	v_or_b32_e32 v6, 0x1000, v3
	v_med3_i32 v10, v10, 0, 13
	v_lshrrev_b32_e32 v12, v10, v6
	v_lshlrev_b32_e32 v10, v10, v12
	v_cmp_ne_u32_e32 vcc, v10, v6
	v_add_u32_e32 v8, 0xfffffc10, v8
	v_lshl_or_b32 v10, v8, 12, v3
	v_cndmask_b32_e64 v6, 0, 1, vcc
	v_or_b32_e32 v6, v12, v6
	v_cmp_gt_i32_e32 vcc, 1, v8
	v_bitop3_b32 v1, v5, s6, v1 bitop3:0xc8
	v_accvgpr_read_b32 v12, a15
	v_cndmask_b32_e32 v6, v10, v6, vcc
	v_and_b32_e32 v10, 7, v6
	v_cmp_lt_i32_e32 vcc, 5, v10
	v_cmp_eq_u32_e64 s[0:1], 3, v10
	v_lshrrev_b32_e32 v6, 2, v6
	s_or_b64 vcc, s[0:1], vcc
	v_addc_co_u32_e32 v6, vcc, 0, v6, vcc
	v_cmp_gt_i32_e32 vcc, 31, v8
	v_mad_u64_u32 v[14:15], s[0:1], s4, v153, v[14:15]
	s_nop 0
	v_cndmask_b32_e32 v6, v18, v6, vcc
	v_cmp_ne_u32_e32 vcc, 0, v3
	v_add_u32_e32 v15, s11, v15
	s_nop 0
	v_cndmask_b32_e64 v3, 0, 1, vcc
	v_lshl_or_b32 v3, v3, 9, v18
	v_cmp_eq_u32_e32 vcc, s9, v8
	s_nop 1
	v_cndmask_b32_e32 v3, v6, v3, vcc
	v_lshrrev_b32_e32 v6, 16, v17
	v_and_or_b32 v3, v6, s10, v3
	v_lshl_or_b32 v1, v3, 16, v1
	v_lshrrev_b32_e32 v3, 16, v13
	v_accvgpr_read_b32 v6, a15
	v_mul_f16_sdwa v5, v6, v3 dst_sel:DWORD dst_unused:UNUSED_PAD src0_sel:WORD_1 src1_sel:DWORD
	v_fma_f16 v5, v6, v13, v5
	v_cvt_f32_f16_e32 v5, v5
	global_store_dword v[14:15], v1, off
	v_cvt_f64_f32_e32 v[16:17], v5
	v_mul_f64 v[16:17], v[16:17], s[2:3]
	v_and_or_b32 v1, v17, s7, v16
	v_cmp_ne_u32_e32 vcc, 0, v1
	v_lshrrev_b32_e32 v5, 8, v17
	v_bfe_u32 v6, v17, 20, 11
	v_cndmask_b32_e64 v1, 0, 1, vcc
	v_and_or_b32 v1, v5, s8, v1
	v_sub_u32_e32 v8, 0x3f1, v6
	v_or_b32_e32 v5, 0x1000, v1
	v_med3_i32 v8, v8, 0, 13
	v_lshrrev_b32_e32 v10, v8, v5
	v_lshlrev_b32_e32 v8, v8, v10
	v_cmp_ne_u32_e32 vcc, v8, v5
	v_add_u32_e32 v6, 0xfffffc10, v6
	v_lshl_or_b32 v8, v6, 12, v1
	v_cndmask_b32_e64 v5, 0, 1, vcc
	v_or_b32_e32 v5, v10, v5
	v_cmp_gt_i32_e32 vcc, 1, v6
	s_nop 1
	v_cndmask_b32_e32 v5, v8, v5, vcc
	v_and_b32_e32 v8, 7, v5
	v_cmp_lt_i32_e32 vcc, 5, v8
	v_cmp_eq_u32_e64 s[0:1], 3, v8
	v_mul_f16_sdwa v8, v12, v13 dst_sel:DWORD dst_unused:UNUSED_PAD src0_sel:WORD_1 src1_sel:DWORD
	v_lshrrev_b32_e32 v5, 2, v5
	s_or_b64 vcc, s[0:1], vcc
	v_fma_f16 v3, v12, v3, -v8
	v_addc_co_u32_e32 v5, vcc, 0, v5, vcc
	v_cvt_f32_f16_e32 v3, v3
	v_cmp_gt_i32_e32 vcc, 31, v6
	v_cvt_f64_f32_e32 v[12:13], v3
	s_nop 0
	v_cndmask_b32_e32 v5, v18, v5, vcc
	v_cmp_ne_u32_e32 vcc, 0, v1
	s_nop 1
	v_cndmask_b32_e64 v1, 0, 1, vcc
	v_lshl_or_b32 v1, v1, 9, v18
	v_cmp_eq_u32_e32 vcc, s9, v6
	s_nop 1
	v_cndmask_b32_e32 v1, v5, v1, vcc
	v_and_b32_sdwa v5, v17, s10 dst_sel:DWORD dst_unused:UNUSED_PAD src0_sel:WORD_1 src1_sel:DWORD
	v_mul_f64 v[16:17], v[12:13], s[2:3]
	v_and_or_b32 v3, v17, s7, v16
	v_cmp_ne_u32_e32 vcc, 0, v3
	v_lshrrev_b32_e32 v6, 8, v17
	v_bfe_u32 v8, v17, 20, 11
	v_cndmask_b32_e64 v3, 0, 1, vcc
	v_and_or_b32 v3, v6, s8, v3
	v_sub_u32_e32 v10, 0x3f1, v8
	v_or_b32_e32 v6, 0x1000, v3
	v_med3_i32 v10, v10, 0, 13
	v_lshrrev_b32_e32 v12, v10, v6
	v_lshlrev_b32_e32 v10, v10, v12
	v_cmp_ne_u32_e32 vcc, v10, v6
	v_add_u32_e32 v8, 0xfffffc10, v8
	v_lshl_or_b32 v10, v8, 12, v3
	v_cndmask_b32_e64 v6, 0, 1, vcc
	v_or_b32_e32 v6, v12, v6
	v_cmp_gt_i32_e32 vcc, 1, v8
	ds_read2_b32 v[12:13], v209 offset0:206 offset1:255
	v_bitop3_b32 v1, v5, s6, v1 bitop3:0xc8
	v_cndmask_b32_e32 v6, v10, v6, vcc
	v_and_b32_e32 v10, 7, v6
	v_cmp_lt_i32_e32 vcc, 5, v10
	v_cmp_eq_u32_e64 s[0:1], 3, v10
	v_lshrrev_b32_e32 v6, 2, v6
	s_or_b64 vcc, s[0:1], vcc
	v_addc_co_u32_e32 v6, vcc, 0, v6, vcc
	v_cmp_gt_i32_e32 vcc, 31, v8
	v_mad_u64_u32 v[14:15], s[0:1], s4, v153, v[14:15]
	s_nop 0
	v_cndmask_b32_e32 v6, v18, v6, vcc
	v_cmp_ne_u32_e32 vcc, 0, v3
	v_add_u32_e32 v15, s11, v15
	s_nop 0
	v_cndmask_b32_e64 v3, 0, 1, vcc
	v_lshl_or_b32 v3, v3, 9, v18
	v_cmp_eq_u32_e32 vcc, s9, v8
	s_nop 1
	v_cndmask_b32_e32 v3, v6, v3, vcc
	v_lshrrev_b32_e32 v6, 16, v17
	v_and_or_b32 v3, v6, s10, v3
	v_lshl_or_b32 v1, v3, 16, v1
	s_waitcnt lgkmcnt(0)
	v_lshrrev_b32_e32 v3, 16, v12
	v_accvgpr_read_b32 v6, a14
	v_mul_f16_sdwa v5, v6, v3 dst_sel:DWORD dst_unused:UNUSED_PAD src0_sel:WORD_1 src1_sel:DWORD
	v_fma_f16 v5, v6, v12, v5
	v_cvt_f32_f16_e32 v5, v5
	global_store_dword v[14:15], v1, off
	v_cvt_f64_f32_e32 v[16:17], v5
	v_mul_f64 v[16:17], v[16:17], s[2:3]
	v_and_or_b32 v1, v17, s7, v16
	v_cmp_ne_u32_e32 vcc, 0, v1
	v_lshrrev_b32_e32 v5, 8, v17
	v_bfe_u32 v6, v17, 20, 11
	v_cndmask_b32_e64 v1, 0, 1, vcc
	v_and_or_b32 v1, v5, s8, v1
	v_sub_u32_e32 v8, 0x3f1, v6
	v_or_b32_e32 v5, 0x1000, v1
	v_med3_i32 v8, v8, 0, 13
	v_lshrrev_b32_e32 v10, v8, v5
	v_lshlrev_b32_e32 v8, v8, v10
	v_cmp_ne_u32_e32 vcc, v8, v5
	v_add_u32_e32 v6, 0xfffffc10, v6
	v_lshl_or_b32 v8, v6, 12, v1
	v_cndmask_b32_e64 v5, 0, 1, vcc
	v_or_b32_e32 v5, v10, v5
	v_cmp_gt_i32_e32 vcc, 1, v6
	s_nop 1
	v_cndmask_b32_e32 v5, v8, v5, vcc
	v_and_b32_e32 v8, 7, v5
	v_cmp_lt_i32_e32 vcc, 5, v8
	v_cmp_eq_u32_e64 s[0:1], 3, v8
	v_lshrrev_b32_e32 v5, 2, v5
	s_or_b64 vcc, s[0:1], vcc
	v_mul_f16_sdwa v8, v20, v12 dst_sel:DWORD dst_unused:UNUSED_PAD src0_sel:WORD_1 src1_sel:DWORD
	v_addc_co_u32_e32 v5, vcc, 0, v5, vcc
	v_fma_f16 v3, v20, v3, -v8
	v_cmp_gt_i32_e32 vcc, 31, v6
	v_cvt_f32_f16_e32 v3, v3
	v_accvgpr_read_b32 v20, a12
	v_cndmask_b32_e32 v5, v18, v5, vcc
	v_cmp_ne_u32_e32 vcc, 0, v1
	s_nop 1
	v_cndmask_b32_e64 v1, 0, 1, vcc
	v_lshl_or_b32 v1, v1, 9, v18
	v_cmp_eq_u32_e32 vcc, s9, v6
	s_nop 1
	v_cndmask_b32_e32 v1, v5, v1, vcc
	v_and_b32_sdwa v5, v17, s10 dst_sel:DWORD dst_unused:UNUSED_PAD src0_sel:WORD_1 src1_sel:DWORD
	v_cvt_f64_f32_e32 v[16:17], v3
	v_mul_f64 v[16:17], v[16:17], s[2:3]
	v_and_or_b32 v3, v17, s7, v16
	v_cmp_ne_u32_e32 vcc, 0, v3
	v_lshrrev_b32_e32 v6, 8, v17
	v_bfe_u32 v8, v17, 20, 11
	v_cndmask_b32_e64 v3, 0, 1, vcc
	v_and_or_b32 v3, v6, s8, v3
	v_sub_u32_e32 v10, 0x3f1, v8
	v_or_b32_e32 v6, 0x1000, v3
	v_med3_i32 v10, v10, 0, 13
	v_lshrrev_b32_e32 v12, v10, v6
	v_lshlrev_b32_e32 v10, v10, v12
	v_cmp_ne_u32_e32 vcc, v10, v6
	v_add_u32_e32 v8, 0xfffffc10, v8
	v_lshl_or_b32 v10, v8, 12, v3
	v_cndmask_b32_e64 v6, 0, 1, vcc
	v_or_b32_e32 v6, v12, v6
	v_cmp_gt_i32_e32 vcc, 1, v8
	v_bitop3_b32 v1, v5, s6, v1 bitop3:0xc8
	v_accvgpr_read_b32 v12, a13
	v_cndmask_b32_e32 v6, v10, v6, vcc
	v_and_b32_e32 v10, 7, v6
	v_cmp_lt_i32_e32 vcc, 5, v10
	v_cmp_eq_u32_e64 s[0:1], 3, v10
	v_lshrrev_b32_e32 v6, 2, v6
	s_or_b64 vcc, s[0:1], vcc
	v_addc_co_u32_e32 v6, vcc, 0, v6, vcc
	v_cmp_gt_i32_e32 vcc, 31, v8
	v_mad_u64_u32 v[14:15], s[0:1], s4, v153, v[14:15]
	s_nop 0
	v_cndmask_b32_e32 v6, v18, v6, vcc
	v_cmp_ne_u32_e32 vcc, 0, v3
	v_add_u32_e32 v15, s11, v15
	s_nop 0
	v_cndmask_b32_e64 v3, 0, 1, vcc
	v_lshl_or_b32 v3, v3, 9, v18
	v_cmp_eq_u32_e32 vcc, s9, v8
	s_nop 1
	v_cndmask_b32_e32 v3, v6, v3, vcc
	v_lshrrev_b32_e32 v6, 16, v17
	v_and_or_b32 v3, v6, s10, v3
	v_lshl_or_b32 v1, v3, 16, v1
	v_lshrrev_b32_e32 v3, 16, v7
	v_accvgpr_read_b32 v6, a13
	v_mul_f16_sdwa v5, v6, v3 dst_sel:DWORD dst_unused:UNUSED_PAD src0_sel:WORD_1 src1_sel:DWORD
	v_fma_f16 v5, v6, v7, v5
	v_cvt_f32_f16_e32 v5, v5
	global_store_dword v[14:15], v1, off
	v_mul_f16_sdwa v7, v12, v7 dst_sel:DWORD dst_unused:UNUSED_PAD src0_sel:WORD_1 src1_sel:DWORD
	v_fma_f16 v3, v12, v3, -v7
	v_cvt_f64_f32_e32 v[16:17], v5
	v_mul_f64 v[16:17], v[16:17], s[2:3]
	v_and_or_b32 v1, v17, s7, v16
	v_cmp_ne_u32_e32 vcc, 0, v1
	v_lshrrev_b32_e32 v5, 8, v17
	v_bfe_u32 v6, v17, 20, 11
	v_cndmask_b32_e64 v1, 0, 1, vcc
	v_and_or_b32 v1, v5, s8, v1
	v_sub_u32_e32 v8, 0x3f1, v6
	v_or_b32_e32 v5, 0x1000, v1
	v_med3_i32 v8, v8, 0, 13
	v_lshrrev_b32_e32 v10, v8, v5
	v_lshlrev_b32_e32 v8, v8, v10
	v_cmp_ne_u32_e32 vcc, v8, v5
	v_add_u32_e32 v6, 0xfffffc10, v6
	v_lshl_or_b32 v8, v6, 12, v1
	v_cndmask_b32_e64 v5, 0, 1, vcc
	v_or_b32_e32 v5, v10, v5
	v_cmp_gt_i32_e32 vcc, 1, v6
	v_cvt_f32_f16_e32 v3, v3
	s_nop 0
	v_cndmask_b32_e32 v5, v8, v5, vcc
	v_and_b32_e32 v8, 7, v5
	v_cmp_lt_i32_e32 vcc, 5, v8
	v_cmp_eq_u32_e64 s[0:1], 3, v8
	v_lshrrev_b32_e32 v5, 2, v5
	s_or_b64 vcc, s[0:1], vcc
	v_addc_co_u32_e32 v5, vcc, 0, v5, vcc
	v_cmp_gt_i32_e32 vcc, 31, v6
	s_nop 1
	v_cndmask_b32_e32 v5, v18, v5, vcc
	v_cmp_ne_u32_e32 vcc, 0, v1
	s_nop 1
	v_cndmask_b32_e64 v1, 0, 1, vcc
	v_lshl_or_b32 v1, v1, 9, v18
	v_cmp_eq_u32_e32 vcc, s9, v6
	v_cvt_f64_f32_e32 v[6:7], v3
	s_nop 0
	v_cndmask_b32_e32 v1, v5, v1, vcc
	v_and_b32_sdwa v5, v17, s10 dst_sel:DWORD dst_unused:UNUSED_PAD src0_sel:WORD_1 src1_sel:DWORD
	v_mul_f64 v[16:17], v[6:7], s[2:3]
	v_and_or_b32 v3, v17, s7, v16
	v_cmp_ne_u32_e32 vcc, 0, v3
	v_lshrrev_b32_e32 v6, 8, v17
	v_bfe_u32 v7, v17, 20, 11
	v_cndmask_b32_e64 v3, 0, 1, vcc
	v_and_or_b32 v3, v6, s8, v3
	v_sub_u32_e32 v8, 0x3f1, v7
	v_or_b32_e32 v6, 0x1000, v3
	v_med3_i32 v8, v8, 0, 13
	v_lshrrev_b32_e32 v10, v8, v6
	v_lshlrev_b32_e32 v8, v8, v10
	v_cmp_ne_u32_e32 vcc, v8, v6
	v_add_u32_e32 v7, 0xfffffc10, v7
	v_lshl_or_b32 v8, v7, 12, v3
	v_cndmask_b32_e64 v6, 0, 1, vcc
	v_or_b32_e32 v6, v10, v6
	v_cmp_gt_i32_e32 vcc, 1, v7
	v_bitop3_b32 v1, v5, s6, v1 bitop3:0xc8
	s_nop 0
	v_cndmask_b32_e32 v6, v8, v6, vcc
	v_and_b32_e32 v8, 7, v6
	v_cmp_lt_i32_e32 vcc, 5, v8
	v_cmp_eq_u32_e64 s[0:1], 3, v8
	v_lshrrev_b32_e32 v6, 2, v6
	s_or_b64 vcc, s[0:1], vcc
	v_addc_co_u32_e32 v6, vcc, 0, v6, vcc
	v_cmp_gt_i32_e32 vcc, 31, v7
	v_lshrrev_b32_e32 v8, 16, v17
	v_mad_u64_u32 v[14:15], s[0:1], s4, v19, v[14:15]
	v_cndmask_b32_e32 v6, v18, v6, vcc
	v_cmp_ne_u32_e32 vcc, 0, v3
	v_add_u32_e32 v15, s5, v15
	s_nop 0
	v_cndmask_b32_e64 v3, 0, 1, vcc
	v_lshl_or_b32 v3, v3, 9, v18
	v_cmp_eq_u32_e32 vcc, s9, v7
	s_nop 1
	v_cndmask_b32_e32 v3, v6, v3, vcc
	ds_read2_b32 v[6:7], v207 offset0:76 offset1:125
	v_and_or_b32 v3, v8, s10, v3
	v_lshl_or_b32 v1, v3, 16, v1
	v_accvgpr_read_b32 v8, a12
	global_store_dword v[14:15], v1, off
	s_waitcnt lgkmcnt(0)
	v_lshrrev_b32_e32 v3, 16, v6
	v_mul_f16_sdwa v5, v8, v3 dst_sel:DWORD dst_unused:UNUSED_PAD src0_sel:WORD_1 src1_sel:DWORD
	v_fma_f16 v5, v8, v6, v5
	v_cvt_f32_f16_e32 v5, v5
	v_mul_f16_sdwa v6, v20, v6 dst_sel:DWORD dst_unused:UNUSED_PAD src0_sel:WORD_1 src1_sel:DWORD
	v_fma_f16 v3, v20, v3, -v6
	v_cvt_f32_f16_e32 v3, v3
	v_cvt_f64_f32_e32 v[16:17], v5
	v_mul_f64 v[16:17], v[16:17], s[2:3]
	v_and_or_b32 v1, v17, s7, v16
	v_cmp_ne_u32_e32 vcc, 0, v1
	v_lshrrev_b32_e32 v5, 8, v17
	v_bfe_u32 v8, v17, 20, 11
	v_cndmask_b32_e64 v1, 0, 1, vcc
	v_and_or_b32 v1, v5, s8, v1
	v_sub_u32_e32 v10, 0x3f1, v8
	v_or_b32_e32 v5, 0x1000, v1
	v_med3_i32 v10, v10, 0, 13
	v_lshrrev_b32_e32 v12, v10, v5
	v_lshlrev_b32_e32 v10, v10, v12
	v_cmp_ne_u32_e32 vcc, v10, v5
	v_add_u32_e32 v8, 0xfffffc10, v8
	v_lshl_or_b32 v10, v8, 12, v1
	v_cndmask_b32_e64 v5, 0, 1, vcc
	v_or_b32_e32 v5, v12, v5
	v_cmp_gt_i32_e32 vcc, 1, v8
	v_accvgpr_read_b32 v20, a10
	s_nop 0
	v_cndmask_b32_e32 v5, v10, v5, vcc
	v_and_b32_e32 v10, 7, v5
	v_cmp_lt_i32_e32 vcc, 5, v10
	v_cmp_eq_u32_e64 s[0:1], 3, v10
	v_lshrrev_b32_e32 v5, 2, v5
	s_or_b64 vcc, s[0:1], vcc
	v_addc_co_u32_e32 v5, vcc, 0, v5, vcc
	v_cmp_gt_i32_e32 vcc, 31, v8
	s_nop 1
	v_cndmask_b32_e32 v5, v18, v5, vcc
	v_cmp_ne_u32_e32 vcc, 0, v1
	s_nop 1
	v_cndmask_b32_e64 v1, 0, 1, vcc
	v_lshl_or_b32 v1, v1, 9, v18
	v_cmp_eq_u32_e32 vcc, s9, v8
	s_nop 1
	v_cndmask_b32_e32 v1, v5, v1, vcc
	v_and_b32_sdwa v5, v17, s10 dst_sel:DWORD dst_unused:UNUSED_PAD src0_sel:WORD_1 src1_sel:DWORD
	v_cvt_f64_f32_e32 v[16:17], v3
	v_mul_f64 v[16:17], v[16:17], s[2:3]
	v_and_or_b32 v3, v17, s7, v16
	v_cmp_ne_u32_e32 vcc, 0, v3
	v_lshrrev_b32_e32 v6, 8, v17
	v_bfe_u32 v8, v17, 20, 11
	v_cndmask_b32_e64 v3, 0, 1, vcc
	v_and_or_b32 v3, v6, s8, v3
	v_sub_u32_e32 v10, 0x3f1, v8
	v_or_b32_e32 v6, 0x1000, v3
	v_med3_i32 v10, v10, 0, 13
	v_lshrrev_b32_e32 v12, v10, v6
	v_lshlrev_b32_e32 v10, v10, v12
	v_cmp_ne_u32_e32 vcc, v10, v6
	v_add_u32_e32 v8, 0xfffffc10, v8
	v_lshl_or_b32 v10, v8, 12, v3
	v_cndmask_b32_e64 v6, 0, 1, vcc
	v_or_b32_e32 v6, v12, v6
	v_cmp_gt_i32_e32 vcc, 1, v8
	v_bitop3_b32 v1, v5, s6, v1 bitop3:0xc8
	v_accvgpr_read_b32 v12, a11
	v_cndmask_b32_e32 v6, v10, v6, vcc
	v_and_b32_e32 v10, 7, v6
	v_cmp_lt_i32_e32 vcc, 5, v10
	v_cmp_eq_u32_e64 s[0:1], 3, v10
	v_lshrrev_b32_e32 v6, 2, v6
	s_or_b64 vcc, s[0:1], vcc
	v_addc_co_u32_e32 v6, vcc, 0, v6, vcc
	v_cmp_gt_i32_e32 vcc, 31, v8
	v_mad_u64_u32 v[14:15], s[0:1], s4, v153, v[14:15]
	s_nop 0
	v_cndmask_b32_e32 v6, v18, v6, vcc
	v_cmp_ne_u32_e32 vcc, 0, v3
	v_add_u32_e32 v15, s11, v15
	s_nop 0
	v_cndmask_b32_e64 v3, 0, 1, vcc
	v_lshl_or_b32 v3, v3, 9, v18
	v_cmp_eq_u32_e32 vcc, s9, v8
	s_nop 1
	v_cndmask_b32_e32 v3, v6, v3, vcc
	v_lshrrev_b32_e32 v6, 16, v17
	v_and_or_b32 v3, v6, s10, v3
	v_lshl_or_b32 v1, v3, 16, v1
	v_lshrrev_b32_e32 v3, 16, v9
	v_accvgpr_read_b32 v6, a11
	v_mul_f16_sdwa v5, v6, v3 dst_sel:DWORD dst_unused:UNUSED_PAD src0_sel:WORD_1 src1_sel:DWORD
	v_fma_f16 v5, v6, v9, v5
	v_cvt_f32_f16_e32 v5, v5
	global_store_dword v[14:15], v1, off
	v_cvt_f64_f32_e32 v[16:17], v5
	v_mul_f64 v[16:17], v[16:17], s[2:3]
	v_and_or_b32 v1, v17, s7, v16
	v_cmp_ne_u32_e32 vcc, 0, v1
	v_lshrrev_b32_e32 v5, 8, v17
	v_bfe_u32 v6, v17, 20, 11
	v_cndmask_b32_e64 v1, 0, 1, vcc
	v_and_or_b32 v1, v5, s8, v1
	v_sub_u32_e32 v8, 0x3f1, v6
	v_or_b32_e32 v5, 0x1000, v1
	v_med3_i32 v8, v8, 0, 13
	v_lshrrev_b32_e32 v10, v8, v5
	v_lshlrev_b32_e32 v8, v8, v10
	v_cmp_ne_u32_e32 vcc, v8, v5
	v_add_u32_e32 v6, 0xfffffc10, v6
	v_lshl_or_b32 v8, v6, 12, v1
	v_cndmask_b32_e64 v5, 0, 1, vcc
	v_or_b32_e32 v5, v10, v5
	v_cmp_gt_i32_e32 vcc, 1, v6
	s_nop 1
	v_cndmask_b32_e32 v5, v8, v5, vcc
	v_and_b32_e32 v8, 7, v5
	v_cmp_lt_i32_e32 vcc, 5, v8
	v_cmp_eq_u32_e64 s[0:1], 3, v8
	v_mul_f16_sdwa v8, v12, v9 dst_sel:DWORD dst_unused:UNUSED_PAD src0_sel:WORD_1 src1_sel:DWORD
	v_lshrrev_b32_e32 v5, 2, v5
	s_or_b64 vcc, s[0:1], vcc
	v_fma_f16 v3, v12, v3, -v8
	v_addc_co_u32_e32 v5, vcc, 0, v5, vcc
	v_cvt_f32_f16_e32 v3, v3
	v_cmp_gt_i32_e32 vcc, 31, v6
	v_cvt_f64_f32_e32 v[8:9], v3
	s_nop 0
	v_cndmask_b32_e32 v5, v18, v5, vcc
	v_cmp_ne_u32_e32 vcc, 0, v1
	s_nop 1
	v_cndmask_b32_e64 v1, 0, 1, vcc
	v_lshl_or_b32 v1, v1, 9, v18
	v_cmp_eq_u32_e32 vcc, s9, v6
	s_nop 1
	v_cndmask_b32_e32 v1, v5, v1, vcc
	v_and_b32_sdwa v5, v17, s10 dst_sel:DWORD dst_unused:UNUSED_PAD src0_sel:WORD_1 src1_sel:DWORD
	v_mul_f64 v[16:17], v[8:9], s[2:3]
	v_and_or_b32 v3, v17, s7, v16
	v_cmp_ne_u32_e32 vcc, 0, v3
	v_lshrrev_b32_e32 v6, 8, v17
	v_bfe_u32 v8, v17, 20, 11
	v_cndmask_b32_e64 v3, 0, 1, vcc
	v_and_or_b32 v3, v6, s8, v3
	v_sub_u32_e32 v9, 0x3f1, v8
	v_or_b32_e32 v6, 0x1000, v3
	v_med3_i32 v9, v9, 0, 13
	v_lshrrev_b32_e32 v10, v9, v6
	v_lshlrev_b32_e32 v9, v9, v10
	v_cmp_ne_u32_e32 vcc, v9, v6
	v_add_u32_e32 v8, 0xfffffc10, v8
	v_lshl_or_b32 v9, v8, 12, v3
	v_cndmask_b32_e64 v6, 0, 1, vcc
	v_or_b32_e32 v6, v10, v6
	v_cmp_gt_i32_e32 vcc, 1, v8
	v_bitop3_b32 v1, v5, s6, v1 bitop3:0xc8
	s_nop 0
	v_cndmask_b32_e32 v6, v9, v6, vcc
	v_and_b32_e32 v9, 7, v6
	v_cmp_lt_i32_e32 vcc, 5, v9
	v_cmp_eq_u32_e64 s[0:1], 3, v9
	v_lshrrev_b32_e32 v6, 2, v6
	s_or_b64 vcc, s[0:1], vcc
	v_addc_co_u32_e32 v6, vcc, 0, v6, vcc
	v_cmp_gt_i32_e32 vcc, 31, v8
	v_mad_u64_u32 v[14:15], s[0:1], s4, v153, v[14:15]
	s_nop 0
	v_cndmask_b32_e32 v6, v18, v6, vcc
	v_cmp_ne_u32_e32 vcc, 0, v3
	v_add_u32_e32 v15, s11, v15
	s_nop 0
	v_cndmask_b32_e64 v3, 0, 1, vcc
	v_cmp_eq_u32_e32 vcc, s9, v8
	ds_read2_b32 v[8:9], v21 offset0:122 offset1:171
	v_lshl_or_b32 v3, v3, 9, v18
	v_cndmask_b32_e32 v3, v6, v3, vcc
	v_lshrrev_b32_e32 v6, 16, v17
	v_and_or_b32 v3, v6, s10, v3
	v_lshl_or_b32 v1, v3, 16, v1
	s_waitcnt lgkmcnt(0)
	v_lshrrev_b32_e32 v3, 16, v8
	v_accvgpr_read_b32 v6, a10
	v_mul_f16_sdwa v5, v6, v3 dst_sel:DWORD dst_unused:UNUSED_PAD src0_sel:WORD_1 src1_sel:DWORD
	v_fma_f16 v5, v6, v8, v5
	v_cvt_f32_f16_e32 v5, v5
	global_store_dword v[14:15], v1, off
	v_mul_f16_sdwa v8, v20, v8 dst_sel:DWORD dst_unused:UNUSED_PAD src0_sel:WORD_1 src1_sel:DWORD
	v_fma_f16 v3, v20, v3, -v8
	v_cvt_f64_f32_e32 v[16:17], v5
	v_mul_f64 v[16:17], v[16:17], s[2:3]
	v_and_or_b32 v1, v17, s7, v16
	v_cmp_ne_u32_e32 vcc, 0, v1
	v_lshrrev_b32_e32 v5, 8, v17
	v_bfe_u32 v6, v17, 20, 11
	v_cndmask_b32_e64 v1, 0, 1, vcc
	v_and_or_b32 v1, v5, s8, v1
	v_sub_u32_e32 v10, 0x3f1, v6
	v_or_b32_e32 v5, 0x1000, v1
	v_med3_i32 v10, v10, 0, 13
	v_lshrrev_b32_e32 v12, v10, v5
	v_lshlrev_b32_e32 v10, v10, v12
	v_cmp_ne_u32_e32 vcc, v10, v5
	v_add_u32_e32 v6, 0xfffffc10, v6
	v_lshl_or_b32 v10, v6, 12, v1
	v_cndmask_b32_e64 v5, 0, 1, vcc
	v_or_b32_e32 v5, v12, v5
	v_cmp_gt_i32_e32 vcc, 1, v6
	v_cvt_f32_f16_e32 v3, v3
	v_accvgpr_read_b32 v20, a8
	v_cndmask_b32_e32 v5, v10, v5, vcc
	v_and_b32_e32 v10, 7, v5
	v_cmp_lt_i32_e32 vcc, 5, v10
	v_cmp_eq_u32_e64 s[0:1], 3, v10
	v_lshrrev_b32_e32 v5, 2, v5
	s_or_b64 vcc, s[0:1], vcc
	v_addc_co_u32_e32 v5, vcc, 0, v5, vcc
	v_cmp_gt_i32_e32 vcc, 31, v6
	s_nop 1
	v_cndmask_b32_e32 v5, v18, v5, vcc
	v_cmp_ne_u32_e32 vcc, 0, v1
	s_nop 1
	v_cndmask_b32_e64 v1, 0, 1, vcc
	v_lshl_or_b32 v1, v1, 9, v18
	v_cmp_eq_u32_e32 vcc, s9, v6
	s_nop 1
	v_cndmask_b32_e32 v1, v5, v1, vcc
	v_and_b32_sdwa v5, v17, s10 dst_sel:DWORD dst_unused:UNUSED_PAD src0_sel:WORD_1 src1_sel:DWORD
	v_cvt_f64_f32_e32 v[16:17], v3
	v_mul_f64 v[16:17], v[16:17], s[2:3]
	v_and_or_b32 v3, v17, s7, v16
	v_cmp_ne_u32_e32 vcc, 0, v3
	v_lshrrev_b32_e32 v6, 8, v17
	v_bfe_u32 v8, v17, 20, 11
	v_cndmask_b32_e64 v3, 0, 1, vcc
	v_and_or_b32 v3, v6, s8, v3
	v_sub_u32_e32 v10, 0x3f1, v8
	v_or_b32_e32 v6, 0x1000, v3
	v_med3_i32 v10, v10, 0, 13
	v_lshrrev_b32_e32 v12, v10, v6
	v_lshlrev_b32_e32 v10, v10, v12
	v_cmp_ne_u32_e32 vcc, v10, v6
	v_add_u32_e32 v8, 0xfffffc10, v8
	v_lshl_or_b32 v10, v8, 12, v3
	v_cndmask_b32_e64 v6, 0, 1, vcc
	v_or_b32_e32 v6, v12, v6
	v_cmp_gt_i32_e32 vcc, 1, v8
	v_bitop3_b32 v1, v5, s6, v1 bitop3:0xc8
	v_accvgpr_read_b32 v12, a9
	v_cndmask_b32_e32 v6, v10, v6, vcc
	v_and_b32_e32 v10, 7, v6
	v_cmp_lt_i32_e32 vcc, 5, v10
	v_cmp_eq_u32_e64 s[0:1], 3, v10
	v_lshrrev_b32_e32 v6, 2, v6
	s_or_b64 vcc, s[0:1], vcc
	v_addc_co_u32_e32 v6, vcc, 0, v6, vcc
	v_cmp_gt_i32_e32 vcc, 31, v8
	v_mad_u64_u32 v[14:15], s[0:1], s4, v153, v[14:15]
	s_nop 0
	v_cndmask_b32_e32 v6, v18, v6, vcc
	v_cmp_ne_u32_e32 vcc, 0, v3
	v_add_u32_e32 v15, s11, v15
	s_nop 0
	v_cndmask_b32_e64 v3, 0, 1, vcc
	v_lshl_or_b32 v3, v3, 9, v18
	v_cmp_eq_u32_e32 vcc, s9, v8
	s_nop 1
	v_cndmask_b32_e32 v3, v6, v3, vcc
	v_lshrrev_b32_e32 v6, 16, v17
	v_and_or_b32 v3, v6, s10, v3
	v_lshl_or_b32 v1, v3, 16, v1
	v_lshrrev_b32_e32 v3, 16, v11
	v_accvgpr_read_b32 v6, a9
	v_mul_f16_sdwa v5, v6, v3 dst_sel:DWORD dst_unused:UNUSED_PAD src0_sel:WORD_1 src1_sel:DWORD
	v_fma_f16 v5, v6, v11, v5
	v_cvt_f32_f16_e32 v5, v5
	global_store_dword v[14:15], v1, off
	v_cvt_f64_f32_e32 v[16:17], v5
	v_mul_f64 v[16:17], v[16:17], s[2:3]
	v_and_or_b32 v1, v17, s7, v16
	v_cmp_ne_u32_e32 vcc, 0, v1
	v_lshrrev_b32_e32 v5, 8, v17
	v_bfe_u32 v6, v17, 20, 11
	v_cndmask_b32_e64 v1, 0, 1, vcc
	v_and_or_b32 v1, v5, s8, v1
	v_sub_u32_e32 v8, 0x3f1, v6
	v_or_b32_e32 v5, 0x1000, v1
	v_med3_i32 v8, v8, 0, 13
	v_lshrrev_b32_e32 v10, v8, v5
	v_lshlrev_b32_e32 v8, v8, v10
	v_cmp_ne_u32_e32 vcc, v8, v5
	v_add_u32_e32 v6, 0xfffffc10, v6
	v_lshl_or_b32 v8, v6, 12, v1
	v_cndmask_b32_e64 v5, 0, 1, vcc
	v_or_b32_e32 v5, v10, v5
	v_cmp_gt_i32_e32 vcc, 1, v6
	s_nop 1
	v_cndmask_b32_e32 v5, v8, v5, vcc
	v_and_b32_e32 v8, 7, v5
	v_cmp_lt_i32_e32 vcc, 5, v8
	v_cmp_eq_u32_e64 s[0:1], 3, v8
	v_mul_f16_sdwa v8, v12, v11 dst_sel:DWORD dst_unused:UNUSED_PAD src0_sel:WORD_1 src1_sel:DWORD
	v_lshrrev_b32_e32 v5, 2, v5
	s_or_b64 vcc, s[0:1], vcc
	v_fma_f16 v3, v12, v3, -v8
	v_addc_co_u32_e32 v5, vcc, 0, v5, vcc
	v_cvt_f32_f16_e32 v3, v3
	v_cmp_gt_i32_e32 vcc, 31, v6
	v_cvt_f64_f32_e32 v[10:11], v3
	s_nop 0
	v_cndmask_b32_e32 v5, v18, v5, vcc
	v_cmp_ne_u32_e32 vcc, 0, v1
	s_nop 1
	v_cndmask_b32_e64 v1, 0, 1, vcc
	v_lshl_or_b32 v1, v1, 9, v18
	v_cmp_eq_u32_e32 vcc, s9, v6
	s_nop 1
	v_cndmask_b32_e32 v1, v5, v1, vcc
	v_and_b32_sdwa v5, v17, s10 dst_sel:DWORD dst_unused:UNUSED_PAD src0_sel:WORD_1 src1_sel:DWORD
	v_mul_f64 v[16:17], v[10:11], s[2:3]
	v_and_or_b32 v3, v17, s7, v16
	v_cmp_ne_u32_e32 vcc, 0, v3
	v_lshrrev_b32_e32 v6, 8, v17
	v_bfe_u32 v8, v17, 20, 11
	v_cndmask_b32_e64 v3, 0, 1, vcc
	v_and_or_b32 v3, v6, s8, v3
	v_sub_u32_e32 v10, 0x3f1, v8
	v_or_b32_e32 v6, 0x1000, v3
	v_med3_i32 v10, v10, 0, 13
	v_lshrrev_b32_e32 v11, v10, v6
	v_lshlrev_b32_e32 v10, v10, v11
	v_cmp_ne_u32_e32 vcc, v10, v6
	v_add_u32_e32 v8, 0xfffffc10, v8
	v_lshl_or_b32 v10, v8, 12, v3
	v_cndmask_b32_e64 v6, 0, 1, vcc
	v_or_b32_e32 v6, v11, v6
	v_cmp_gt_i32_e32 vcc, 1, v8
	v_bitop3_b32 v1, v5, s6, v1 bitop3:0xc8
	s_nop 0
	v_cndmask_b32_e32 v6, v10, v6, vcc
	v_and_b32_e32 v10, 7, v6
	v_cmp_lt_i32_e32 vcc, 5, v10
	v_cmp_eq_u32_e64 s[0:1], 3, v10
	v_lshrrev_b32_e32 v6, 2, v6
	s_or_b64 vcc, s[0:1], vcc
	v_addc_co_u32_e32 v6, vcc, 0, v6, vcc
	v_cmp_gt_i32_e32 vcc, 31, v8
	ds_read2_b32 v[10:11], v191 offset0:168 offset1:217
	v_mad_u64_u32 v[14:15], s[0:1], s4, v153, v[14:15]
	v_cndmask_b32_e32 v6, v18, v6, vcc
	v_cmp_ne_u32_e32 vcc, 0, v3
	v_add_u32_e32 v15, s11, v15
	s_nop 0
	v_cndmask_b32_e64 v3, 0, 1, vcc
	v_lshl_or_b32 v3, v3, 9, v18
	v_cmp_eq_u32_e32 vcc, s9, v8
	s_nop 1
	v_cndmask_b32_e32 v3, v6, v3, vcc
	v_lshrrev_b32_e32 v6, 16, v17
	v_and_or_b32 v3, v6, s10, v3
	v_lshl_or_b32 v1, v3, 16, v1
	s_waitcnt lgkmcnt(0)
	v_lshrrev_b32_e32 v3, 16, v10
	v_accvgpr_read_b32 v6, a8
	v_mul_f16_sdwa v5, v6, v3 dst_sel:DWORD dst_unused:UNUSED_PAD src0_sel:WORD_1 src1_sel:DWORD
	v_fma_f16 v5, v6, v10, v5
	v_cvt_f32_f16_e32 v5, v5
	global_store_dword v[14:15], v1, off
	v_cvt_f64_f32_e32 v[16:17], v5
	v_mul_f64 v[16:17], v[16:17], s[2:3]
	v_and_or_b32 v1, v17, s7, v16
	v_cmp_ne_u32_e32 vcc, 0, v1
	v_lshrrev_b32_e32 v5, 8, v17
	v_bfe_u32 v6, v17, 20, 11
	v_cndmask_b32_e64 v1, 0, 1, vcc
	v_and_or_b32 v1, v5, s8, v1
	v_sub_u32_e32 v8, 0x3f1, v6
	v_or_b32_e32 v5, 0x1000, v1
	v_med3_i32 v8, v8, 0, 13
	v_lshrrev_b32_e32 v12, v8, v5
	v_lshlrev_b32_e32 v8, v8, v12
	v_cmp_ne_u32_e32 vcc, v8, v5
	v_add_u32_e32 v6, 0xfffffc10, v6
	v_lshl_or_b32 v8, v6, 12, v1
	v_cndmask_b32_e64 v5, 0, 1, vcc
	v_or_b32_e32 v5, v12, v5
	v_cmp_gt_i32_e32 vcc, 1, v6
	s_nop 1
	v_cndmask_b32_e32 v5, v8, v5, vcc
	v_and_b32_e32 v8, 7, v5
	v_cmp_lt_i32_e32 vcc, 5, v8
	v_cmp_eq_u32_e64 s[0:1], 3, v8
	v_lshrrev_b32_e32 v5, 2, v5
	s_or_b64 vcc, s[0:1], vcc
	v_mul_f16_sdwa v8, v20, v10 dst_sel:DWORD dst_unused:UNUSED_PAD src0_sel:WORD_1 src1_sel:DWORD
	v_addc_co_u32_e32 v5, vcc, 0, v5, vcc
	v_fma_f16 v3, v20, v3, -v8
	v_cmp_gt_i32_e32 vcc, 31, v6
	v_cvt_f32_f16_e32 v3, v3
	s_nop 0
	v_cndmask_b32_e32 v5, v18, v5, vcc
	v_cmp_ne_u32_e32 vcc, 0, v1
	s_nop 1
	v_cndmask_b32_e64 v1, 0, 1, vcc
	v_lshl_or_b32 v1, v1, 9, v18
	v_cmp_eq_u32_e32 vcc, s9, v6
	s_nop 1
	v_cndmask_b32_e32 v1, v5, v1, vcc
	v_and_b32_sdwa v5, v17, s10 dst_sel:DWORD dst_unused:UNUSED_PAD src0_sel:WORD_1 src1_sel:DWORD
	v_cvt_f64_f32_e32 v[16:17], v3
	v_mul_f64 v[16:17], v[16:17], s[2:3]
	v_and_or_b32 v3, v17, s7, v16
	v_cmp_ne_u32_e32 vcc, 0, v3
	v_lshrrev_b32_e32 v6, 8, v17
	v_bfe_u32 v8, v17, 20, 11
	v_cndmask_b32_e64 v3, 0, 1, vcc
	v_and_or_b32 v3, v6, s8, v3
	v_sub_u32_e32 v10, 0x3f1, v8
	v_or_b32_e32 v6, 0x1000, v3
	v_med3_i32 v10, v10, 0, 13
	v_lshrrev_b32_e32 v12, v10, v6
	v_lshlrev_b32_e32 v10, v10, v12
	v_cmp_ne_u32_e32 vcc, v10, v6
	v_add_u32_e32 v8, 0xfffffc10, v8
	v_lshl_or_b32 v10, v8, 12, v3
	v_cndmask_b32_e64 v6, 0, 1, vcc
	v_or_b32_e32 v6, v12, v6
	v_cmp_gt_i32_e32 vcc, 1, v8
	v_bitop3_b32 v1, v5, s6, v1 bitop3:0xc8
	v_accvgpr_read_b32 v12, a7
	v_cndmask_b32_e32 v6, v10, v6, vcc
	v_and_b32_e32 v10, 7, v6
	v_cmp_lt_i32_e32 vcc, 5, v10
	v_cmp_eq_u32_e64 s[0:1], 3, v10
	v_lshrrev_b32_e32 v6, 2, v6
	s_or_b64 vcc, s[0:1], vcc
	v_addc_co_u32_e32 v6, vcc, 0, v6, vcc
	v_cmp_gt_i32_e32 vcc, 31, v8
	v_mad_u64_u32 v[14:15], s[0:1], s4, v153, v[14:15]
	s_nop 0
	v_cndmask_b32_e32 v6, v18, v6, vcc
	v_cmp_ne_u32_e32 vcc, 0, v3
	v_add_u32_e32 v15, s11, v15
	s_nop 0
	v_cndmask_b32_e64 v3, 0, 1, vcc
	v_lshl_or_b32 v3, v3, 9, v18
	v_cmp_eq_u32_e32 vcc, s9, v8
	s_nop 1
	v_cndmask_b32_e32 v3, v6, v3, vcc
	v_lshrrev_b32_e32 v6, 16, v17
	v_and_or_b32 v3, v6, s10, v3
	v_lshl_or_b32 v1, v3, 16, v1
	v_lshrrev_b32_e32 v3, 16, v13
	v_accvgpr_read_b32 v6, a7
	v_mul_f16_sdwa v5, v6, v3 dst_sel:DWORD dst_unused:UNUSED_PAD src0_sel:WORD_1 src1_sel:DWORD
	v_fma_f16 v5, v6, v13, v5
	v_cvt_f32_f16_e32 v5, v5
	global_store_dword v[14:15], v1, off
	v_cvt_f64_f32_e32 v[16:17], v5
	v_mul_f64 v[16:17], v[16:17], s[2:3]
	v_and_or_b32 v1, v17, s7, v16
	v_cmp_ne_u32_e32 vcc, 0, v1
	v_lshrrev_b32_e32 v5, 8, v17
	v_bfe_u32 v6, v17, 20, 11
	v_cndmask_b32_e64 v1, 0, 1, vcc
	v_and_or_b32 v1, v5, s8, v1
	v_sub_u32_e32 v8, 0x3f1, v6
	v_or_b32_e32 v5, 0x1000, v1
	v_med3_i32 v8, v8, 0, 13
	v_lshrrev_b32_e32 v10, v8, v5
	v_lshlrev_b32_e32 v8, v8, v10
	v_cmp_ne_u32_e32 vcc, v8, v5
	v_add_u32_e32 v6, 0xfffffc10, v6
	v_lshl_or_b32 v8, v6, 12, v1
	v_cndmask_b32_e64 v5, 0, 1, vcc
	v_or_b32_e32 v5, v10, v5
	v_cmp_gt_i32_e32 vcc, 1, v6
	v_accvgpr_read_b32 v16, a6
	s_nop 0
	v_cndmask_b32_e32 v5, v8, v5, vcc
	v_and_b32_e32 v8, 7, v5
	v_cmp_lt_i32_e32 vcc, 5, v8
	v_cmp_eq_u32_e64 s[0:1], 3, v8
	v_mul_f16_sdwa v8, v12, v13 dst_sel:DWORD dst_unused:UNUSED_PAD src0_sel:WORD_1 src1_sel:DWORD
	v_fma_f16 v3, v12, v3, -v8
	v_cvt_f32_f16_e32 v3, v3
	v_lshrrev_b32_e32 v5, 2, v5
	s_or_b64 vcc, s[0:1], vcc
	v_addc_co_u32_e32 v5, vcc, 0, v5, vcc
	v_cmp_gt_i32_e32 vcc, 31, v6
	v_cvt_f64_f32_e32 v[12:13], v3
	v_mul_f64 v[12:13], v[12:13], s[2:3]
	v_cndmask_b32_e32 v5, v18, v5, vcc
	v_cmp_ne_u32_e32 vcc, 0, v1
	v_and_or_b32 v3, v13, s7, v12
	v_bfe_u32 v8, v13, 20, 11
	v_cndmask_b32_e64 v1, 0, 1, vcc
	v_lshl_or_b32 v1, v1, 9, v18
	v_cmp_eq_u32_e32 vcc, s9, v6
	v_lshrrev_b32_e32 v6, 8, v13
	v_sub_u32_e32 v10, 0x3f1, v8
	v_cndmask_b32_e32 v1, v5, v1, vcc
	v_cmp_ne_u32_e32 vcc, 0, v3
	v_med3_i32 v10, v10, 0, 13
	v_add_u32_e32 v8, 0xfffffc10, v8
	v_cndmask_b32_e64 v3, 0, 1, vcc
	v_and_or_b32 v3, v6, s8, v3
	v_or_b32_e32 v6, 0x1000, v3
	v_lshrrev_b32_e32 v12, v10, v6
	v_lshlrev_b32_e32 v10, v10, v12
	v_cmp_ne_u32_e32 vcc, v10, v6
	v_lshl_or_b32 v10, v8, 12, v3
	v_and_b32_sdwa v5, v17, s10 dst_sel:DWORD dst_unused:UNUSED_PAD src0_sel:WORD_1 src1_sel:DWORD
	v_cndmask_b32_e64 v6, 0, 1, vcc
	v_or_b32_e32 v6, v12, v6
	v_cmp_gt_i32_e32 vcc, 1, v8
	v_bitop3_b32 v1, v5, s6, v1 bitop3:0xc8
	s_nop 0
	v_cndmask_b32_e32 v6, v10, v6, vcc
	v_and_b32_e32 v10, 7, v6
	v_cmp_lt_i32_e32 vcc, 5, v10
	v_cmp_eq_u32_e64 s[0:1], 3, v10
	v_lshrrev_b32_e32 v6, 2, v6
	s_or_b64 vcc, s[0:1], vcc
	v_addc_co_u32_e32 v6, vcc, 0, v6, vcc
	v_cmp_gt_i32_e32 vcc, 31, v8
	s_nop 1
	v_cndmask_b32_e32 v6, v18, v6, vcc
	v_cmp_ne_u32_e32 vcc, 0, v3
	s_nop 1
	v_cndmask_b32_e64 v3, 0, 1, vcc
	v_lshl_or_b32 v3, v3, 9, v18
	v_cmp_eq_u32_e32 vcc, s9, v8
	s_nop 1
	v_cndmask_b32_e32 v3, v6, v3, vcc
	v_lshrrev_b32_e32 v6, 16, v13
	v_and_or_b32 v3, v6, s10, v3
	v_lshl_or_b32 v1, v3, 16, v1
	v_lshrrev_b32_e32 v3, 16, v0
	v_accvgpr_read_b32 v6, a6
	v_mul_f16_sdwa v5, v6, v3 dst_sel:DWORD dst_unused:UNUSED_PAD src0_sel:WORD_1 src1_sel:DWORD
	v_fma_f16 v5, v6, v0, v5
	v_cvt_f32_f16_e32 v5, v5
	v_mad_u64_u32 v[12:13], s[0:1], s4, v153, v[14:15]
	v_add_u32_e32 v13, s11, v13
	v_cvt_f64_f32_e32 v[14:15], v5
	v_mul_f64 v[14:15], v[14:15], s[2:3]
	global_store_dword v[12:13], v1, off
	v_and_or_b32 v1, v15, s7, v14
	v_cmp_ne_u32_e32 vcc, 0, v1
	v_lshrrev_b32_e32 v5, 8, v15
	v_bfe_u32 v6, v15, 20, 11
	v_cndmask_b32_e64 v1, 0, 1, vcc
	v_and_or_b32 v1, v5, s8, v1
	v_sub_u32_e32 v8, 0x3f1, v6
	v_or_b32_e32 v5, 0x1000, v1
	v_med3_i32 v8, v8, 0, 13
	v_lshrrev_b32_e32 v10, v8, v5
	v_lshlrev_b32_e32 v8, v8, v10
	v_cmp_ne_u32_e32 vcc, v8, v5
	v_add_u32_e32 v6, 0xfffffc10, v6
	v_lshl_or_b32 v8, v6, 12, v1
	v_cndmask_b32_e64 v5, 0, 1, vcc
	v_or_b32_e32 v5, v10, v5
	v_cmp_gt_i32_e32 vcc, 1, v6
	v_mul_f16_sdwa v0, v16, v0 dst_sel:DWORD dst_unused:UNUSED_PAD src0_sel:WORD_1 src1_sel:DWORD
	v_fma_f16 v0, v16, v3, -v0
	v_cndmask_b32_e32 v5, v8, v5, vcc
	v_and_b32_e32 v8, 7, v5
	v_cmp_lt_i32_e32 vcc, 5, v8
	v_cmp_eq_u32_e64 s[0:1], 3, v8
	v_lshrrev_b32_e32 v5, 2, v5
	s_or_b64 vcc, s[0:1], vcc
	v_addc_co_u32_e32 v5, vcc, 0, v5, vcc
	v_cmp_gt_i32_e32 vcc, 31, v6
	v_cvt_f32_f16_e32 v0, v0
	s_nop 0
	v_cndmask_b32_e32 v5, v18, v5, vcc
	v_cmp_ne_u32_e32 vcc, 0, v1
	s_nop 1
	v_cndmask_b32_e64 v1, 0, 1, vcc
	v_lshl_or_b32 v1, v1, 9, v18
	v_cmp_eq_u32_e32 vcc, s9, v6
	s_nop 1
	v_cndmask_b32_e32 v3, v5, v1, vcc
	v_cvt_f64_f32_e32 v[0:1], v0
	v_mul_f64 v[0:1], v[0:1], s[2:3]
	v_and_or_b32 v0, v1, s7, v0
	v_cmp_ne_u32_e32 vcc, 0, v0
	v_lshrrev_b32_e32 v6, 8, v1
	v_bfe_u32 v8, v1, 20, 11
	v_cndmask_b32_e64 v0, 0, 1, vcc
	v_and_or_b32 v0, v6, s8, v0
	v_sub_u32_e32 v10, 0x3f1, v8
	v_or_b32_e32 v6, 0x1000, v0
	v_med3_i32 v10, v10, 0, 13
	v_lshrrev_b32_e32 v14, v10, v6
	v_lshlrev_b32_e32 v10, v10, v14
	v_cmp_ne_u32_e32 vcc, v10, v6
	v_add_u32_e32 v8, 0xfffffc10, v8
	v_lshl_or_b32 v10, v8, 12, v0
	v_cndmask_b32_e64 v6, 0, 1, vcc
	v_or_b32_e32 v6, v14, v6
	v_cmp_gt_i32_e32 vcc, 1, v8
	v_and_b32_sdwa v5, v15, s10 dst_sel:DWORD dst_unused:UNUSED_PAD src0_sel:WORD_1 src1_sel:DWORD
	v_lshrrev_b32_e32 v1, 16, v1
	v_cndmask_b32_e32 v6, v10, v6, vcc
	v_and_b32_e32 v10, 7, v6
	v_cmp_lt_i32_e32 vcc, 5, v10
	v_cmp_eq_u32_e64 s[0:1], 3, v10
	v_lshrrev_b32_e32 v6, 2, v6
	s_or_b64 vcc, s[0:1], vcc
	v_addc_co_u32_e32 v6, vcc, 0, v6, vcc
	v_cmp_gt_i32_e32 vcc, 31, v8
	v_accvgpr_read_b32 v14, a5
	s_nop 0
	v_cndmask_b32_e32 v6, v18, v6, vcc
	v_cmp_ne_u32_e32 vcc, 0, v0
	s_nop 1
	v_cndmask_b32_e64 v0, 0, 1, vcc
	v_lshl_or_b32 v0, v0, 9, v18
	v_cmp_eq_u32_e32 vcc, s9, v8
	s_nop 1
	v_cndmask_b32_e32 v0, v6, v0, vcc
	v_and_or_b32 v0, v1, s10, v0
	v_bitop3_b32 v1, v5, s6, v3 bitop3:0xc8
	v_lshl_or_b32 v3, v0, 16, v1
	v_lshrrev_b32_e32 v5, 16, v7
	v_accvgpr_read_b32 v1, a5
	v_mul_f16_sdwa v0, v1, v5 dst_sel:DWORD dst_unused:UNUSED_PAD src0_sel:WORD_1 src1_sel:DWORD
	v_fma_f16 v0, v1, v7, v0
	v_cvt_f32_f16_e32 v6, v0
	v_mad_u64_u32 v[0:1], s[0:1], s4, v19, v[12:13]
	v_add_u32_e32 v1, s5, v1
	v_cvt_f64_f32_e32 v[12:13], v6
	v_mul_f64 v[12:13], v[12:13], s[2:3]
	global_store_dword v[0:1], v3, off
	v_and_or_b32 v3, v13, s7, v12
	v_cmp_ne_u32_e32 vcc, 0, v3
	v_lshrrev_b32_e32 v6, 8, v13
	v_bfe_u32 v8, v13, 20, 11
	v_cndmask_b32_e64 v3, 0, 1, vcc
	v_and_or_b32 v3, v6, s8, v3
	v_sub_u32_e32 v10, 0x3f1, v8
	v_or_b32_e32 v6, 0x1000, v3
	v_med3_i32 v10, v10, 0, 13
	v_lshrrev_b32_e32 v12, v10, v6
	v_lshlrev_b32_e32 v10, v10, v12
	v_cmp_ne_u32_e32 vcc, v10, v6
	v_add_u32_e32 v8, 0xfffffc10, v8
	v_lshl_or_b32 v10, v8, 12, v3
	v_cndmask_b32_e64 v6, 0, 1, vcc
	v_or_b32_e32 v6, v12, v6
	v_cmp_gt_i32_e32 vcc, 1, v8
	v_mul_f16_sdwa v7, v14, v7 dst_sel:DWORD dst_unused:UNUSED_PAD src0_sel:WORD_1 src1_sel:DWORD
	v_fma_f16 v5, v14, v5, -v7
	v_cndmask_b32_e32 v6, v10, v6, vcc
	v_and_b32_e32 v10, 7, v6
	v_cmp_lt_i32_e32 vcc, 5, v10
	v_cmp_eq_u32_e64 s[0:1], 3, v10
	v_lshrrev_b32_e32 v6, 2, v6
	s_or_b64 vcc, s[0:1], vcc
	v_addc_co_u32_e32 v6, vcc, 0, v6, vcc
	v_cmp_gt_i32_e32 vcc, 31, v8
	v_cvt_f32_f16_e32 v5, v5
	s_nop 0
	v_cndmask_b32_e32 v6, v18, v6, vcc
	v_cmp_ne_u32_e32 vcc, 0, v3
	s_nop 1
	v_cndmask_b32_e64 v3, 0, 1, vcc
	v_lshl_or_b32 v3, v3, 9, v18
	v_cmp_eq_u32_e32 vcc, s9, v8
	v_and_b32_sdwa v8, v13, s10 dst_sel:DWORD dst_unused:UNUSED_PAD src0_sel:WORD_1 src1_sel:DWORD
	s_nop 0
	v_cndmask_b32_e32 v3, v6, v3, vcc
	v_cvt_f64_f32_e32 v[6:7], v5
	v_mul_f64 v[6:7], v[6:7], s[2:3]
	v_and_or_b32 v5, v7, s7, v6
	v_cmp_ne_u32_e32 vcc, 0, v5
	v_lshrrev_b32_e32 v6, 8, v7
	v_bfe_u32 v10, v7, 20, 11
	v_cndmask_b32_e64 v5, 0, 1, vcc
	v_and_or_b32 v5, v6, s8, v5
	v_sub_u32_e32 v12, 0x3f1, v10
	v_or_b32_e32 v6, 0x1000, v5
	v_med3_i32 v12, v12, 0, 13
	v_lshrrev_b32_e32 v13, v12, v6
	v_lshlrev_b32_e32 v12, v12, v13
	v_cmp_ne_u32_e32 vcc, v12, v6
	v_add_u32_e32 v10, 0xfffffc10, v10
	v_lshl_or_b32 v12, v10, 12, v5
	v_cndmask_b32_e64 v6, 0, 1, vcc
	v_or_b32_e32 v6, v13, v6
	v_cmp_gt_i32_e32 vcc, 1, v10
	v_bitop3_b32 v3, v8, s6, v3 bitop3:0xc8
	v_accvgpr_read_b32 v13, a4
	v_cndmask_b32_e32 v6, v12, v6, vcc
	v_and_b32_e32 v12, 7, v6
	v_cmp_lt_i32_e32 vcc, 5, v12
	v_cmp_eq_u32_e64 s[0:1], 3, v12
	v_lshrrev_b32_e32 v6, 2, v6
	s_or_b64 vcc, s[0:1], vcc
	v_addc_co_u32_e32 v6, vcc, 0, v6, vcc
	v_cmp_gt_i32_e32 vcc, 31, v10
	v_mad_u64_u32 v[0:1], s[0:1], s4, v153, v[0:1]
	s_nop 0
	v_cndmask_b32_e32 v6, v18, v6, vcc
	v_cmp_ne_u32_e32 vcc, 0, v5
	v_add_u32_e32 v1, s11, v1
	s_nop 0
	v_cndmask_b32_e64 v5, 0, 1, vcc
	v_lshl_or_b32 v5, v5, 9, v18
	v_cmp_eq_u32_e32 vcc, s9, v10
	s_nop 1
	v_cndmask_b32_e32 v5, v6, v5, vcc
	v_lshrrev_b32_e32 v6, 16, v7
	v_and_or_b32 v5, v6, s10, v5
	v_lshl_or_b32 v3, v5, 16, v3
	v_lshrrev_b32_e32 v5, 16, v2
	v_accvgpr_read_b32 v7, a4
	v_mul_f16_sdwa v6, v7, v5 dst_sel:DWORD dst_unused:UNUSED_PAD src0_sel:WORD_1 src1_sel:DWORD
	v_fma_f16 v6, v7, v2, v6
	v_cvt_f32_f16_e32 v6, v6
	global_store_dword v[0:1], v3, off
	v_mul_f16_sdwa v2, v13, v2 dst_sel:DWORD dst_unused:UNUSED_PAD src0_sel:WORD_1 src1_sel:DWORD
	v_fma_f16 v2, v13, v5, -v2
	v_cvt_f64_f32_e32 v[6:7], v6
	v_mul_f64 v[6:7], v[6:7], s[2:3]
	v_and_or_b32 v3, v7, s7, v6
	v_cmp_ne_u32_e32 vcc, 0, v3
	v_lshrrev_b32_e32 v6, 8, v7
	v_bfe_u32 v8, v7, 20, 11
	v_cndmask_b32_e64 v3, 0, 1, vcc
	v_and_or_b32 v3, v6, s8, v3
	v_sub_u32_e32 v10, 0x3f1, v8
	v_or_b32_e32 v6, 0x1000, v3
	v_med3_i32 v10, v10, 0, 13
	v_lshrrev_b32_e32 v12, v10, v6
	v_lshlrev_b32_e32 v10, v10, v12
	v_cmp_ne_u32_e32 vcc, v10, v6
	v_add_u32_e32 v8, 0xfffffc10, v8
	v_lshl_or_b32 v10, v8, 12, v3
	v_cndmask_b32_e64 v6, 0, 1, vcc
	v_or_b32_e32 v6, v12, v6
	v_cmp_gt_i32_e32 vcc, 1, v8
	v_cvt_f32_f16_e32 v2, v2
	s_nop 0
	v_cndmask_b32_e32 v6, v10, v6, vcc
	v_and_b32_e32 v10, 7, v6
	v_cmp_lt_i32_e32 vcc, 5, v10
	v_cmp_eq_u32_e64 s[0:1], 3, v10
	v_lshrrev_b32_e32 v6, 2, v6
	s_or_b64 vcc, s[0:1], vcc
	v_addc_co_u32_e32 v6, vcc, 0, v6, vcc
	v_cmp_gt_i32_e32 vcc, 31, v8
	s_nop 1
	v_cndmask_b32_e32 v6, v18, v6, vcc
	v_cmp_ne_u32_e32 vcc, 0, v3
	s_nop 1
	v_cndmask_b32_e64 v3, 0, 1, vcc
	v_lshl_or_b32 v3, v3, 9, v18
	v_cmp_eq_u32_e32 vcc, s9, v8
	s_nop 1
	v_cndmask_b32_e32 v5, v6, v3, vcc
	v_cvt_f64_f32_e32 v[2:3], v2
	v_mul_f64 v[2:3], v[2:3], s[2:3]
	v_and_or_b32 v2, v3, s7, v2
	v_cmp_ne_u32_e32 vcc, 0, v2
	v_and_b32_sdwa v6, v7, s10 dst_sel:DWORD dst_unused:UNUSED_PAD src0_sel:WORD_1 src1_sel:DWORD
	v_lshrrev_b32_e32 v7, 8, v3
	v_cndmask_b32_e64 v2, 0, 1, vcc
	v_bfe_u32 v8, v3, 20, 11
	v_and_or_b32 v2, v7, s8, v2
	v_sub_u32_e32 v10, 0x3f1, v8
	v_or_b32_e32 v7, 0x1000, v2
	v_med3_i32 v10, v10, 0, 13
	v_lshrrev_b32_e32 v12, v10, v7
	v_lshlrev_b32_e32 v10, v10, v12
	v_cmp_ne_u32_e32 vcc, v10, v7
	v_add_u32_e32 v8, 0xfffffc10, v8
	v_lshl_or_b32 v10, v8, 12, v2
	v_cndmask_b32_e64 v7, 0, 1, vcc
	v_or_b32_e32 v7, v12, v7
	v_cmp_gt_i32_e32 vcc, 1, v8
	v_lshrrev_b32_e32 v3, 16, v3
	v_accvgpr_read_b32 v12, a3
	v_cndmask_b32_e32 v7, v10, v7, vcc
	v_and_b32_e32 v10, 7, v7
	v_cmp_lt_i32_e32 vcc, 5, v10
	v_cmp_eq_u32_e64 s[0:1], 3, v10
	v_lshrrev_b32_e32 v7, 2, v7
	s_or_b64 vcc, s[0:1], vcc
	v_addc_co_u32_e32 v7, vcc, 0, v7, vcc
	v_cmp_gt_i32_e32 vcc, 31, v8
	v_mad_u64_u32 v[0:1], s[0:1], s4, v153, v[0:1]
	s_nop 0
	v_cndmask_b32_e32 v7, v18, v7, vcc
	v_cmp_ne_u32_e32 vcc, 0, v2
	v_add_u32_e32 v1, s11, v1
	s_nop 0
	v_cndmask_b32_e64 v2, 0, 1, vcc
	v_lshl_or_b32 v2, v2, 9, v18
	v_cmp_eq_u32_e32 vcc, s9, v8
	s_nop 1
	v_cndmask_b32_e32 v2, v7, v2, vcc
	v_and_or_b32 v2, v3, s10, v2
	v_bitop3_b32 v3, v6, s6, v5 bitop3:0xc8
	v_lshrrev_b32_e32 v5, 16, v9
	v_accvgpr_read_b32 v6, a3
	v_lshl_or_b32 v2, v2, 16, v3
	v_mul_f16_sdwa v3, v6, v5 dst_sel:DWORD dst_unused:UNUSED_PAD src0_sel:WORD_1 src1_sel:DWORD
	v_fma_f16 v3, v6, v9, v3
	v_cvt_f32_f16_e32 v3, v3
	global_store_dword v[0:1], v2, off
	v_cvt_f64_f32_e32 v[2:3], v3
	v_mul_f64 v[2:3], v[2:3], s[2:3]
	v_and_or_b32 v2, v3, s7, v2
	v_cmp_ne_u32_e32 vcc, 0, v2
	v_lshrrev_b32_e32 v6, 8, v3
	v_bfe_u32 v7, v3, 20, 11
	v_cndmask_b32_e64 v2, 0, 1, vcc
	v_and_or_b32 v2, v6, s8, v2
	v_sub_u32_e32 v8, 0x3f1, v7
	v_or_b32_e32 v6, 0x1000, v2
	v_med3_i32 v8, v8, 0, 13
	v_lshrrev_b32_e32 v10, v8, v6
	v_lshlrev_b32_e32 v8, v8, v10
	v_cmp_ne_u32_e32 vcc, v8, v6
	v_add_u32_e32 v7, 0xfffffc10, v7
	v_lshl_or_b32 v8, v7, 12, v2
	v_cndmask_b32_e64 v6, 0, 1, vcc
	v_or_b32_e32 v6, v10, v6
	v_cmp_gt_i32_e32 vcc, 1, v7
	s_nop 1
	v_cndmask_b32_e32 v6, v8, v6, vcc
	v_and_b32_e32 v8, 7, v6
	v_cmp_lt_i32_e32 vcc, 5, v8
	v_cmp_eq_u32_e64 s[0:1], 3, v8
	v_lshrrev_b32_e32 v6, 2, v6
	s_or_b64 vcc, s[0:1], vcc
	v_mul_f16_sdwa v8, v12, v9 dst_sel:DWORD dst_unused:UNUSED_PAD src0_sel:WORD_1 src1_sel:DWORD
	v_addc_co_u32_e32 v6, vcc, 0, v6, vcc
	v_fma_f16 v5, v12, v5, -v8
	v_cmp_gt_i32_e32 vcc, 31, v7
	v_cvt_f32_f16_e32 v5, v5
	s_nop 0
	v_cndmask_b32_e32 v6, v18, v6, vcc
	v_cmp_ne_u32_e32 vcc, 0, v2
	s_nop 1
	v_cndmask_b32_e64 v2, 0, 1, vcc
	v_lshl_or_b32 v2, v2, 9, v18
	v_cmp_eq_u32_e32 vcc, s9, v7
	v_and_b32_sdwa v7, v3, s10 dst_sel:DWORD dst_unused:UNUSED_PAD src0_sel:WORD_1 src1_sel:DWORD
	s_nop 0
	v_cndmask_b32_e32 v6, v6, v2, vcc
	v_cvt_f64_f32_e32 v[2:3], v5
	v_mul_f64 v[2:3], v[2:3], s[2:3]
	v_and_or_b32 v2, v3, s7, v2
	v_cmp_ne_u32_e32 vcc, 0, v2
	v_lshrrev_b32_e32 v5, 8, v3
	v_bfe_u32 v8, v3, 20, 11
	v_cndmask_b32_e64 v2, 0, 1, vcc
	v_and_or_b32 v2, v5, s8, v2
	v_sub_u32_e32 v9, 0x3f1, v8
	v_or_b32_e32 v5, 0x1000, v2
	v_med3_i32 v9, v9, 0, 13
	v_lshrrev_b32_e32 v10, v9, v5
	v_lshlrev_b32_e32 v9, v9, v10
	v_cmp_ne_u32_e32 vcc, v9, v5
	v_add_u32_e32 v8, 0xfffffc10, v8
	v_lshl_or_b32 v9, v8, 12, v2
	v_cndmask_b32_e64 v5, 0, 1, vcc
	v_or_b32_e32 v5, v10, v5
	v_cmp_gt_i32_e32 vcc, 1, v8
	v_lshrrev_b32_e32 v3, 16, v3
	v_accvgpr_read_b32 v10, a2
	v_cndmask_b32_e32 v5, v9, v5, vcc
	v_and_b32_e32 v9, 7, v5
	v_cmp_lt_i32_e32 vcc, 5, v9
	v_cmp_eq_u32_e64 s[0:1], 3, v9
	v_lshrrev_b32_e32 v5, 2, v5
	s_or_b64 vcc, s[0:1], vcc
	v_addc_co_u32_e32 v5, vcc, 0, v5, vcc
	v_cmp_gt_i32_e32 vcc, 31, v8
	v_mad_u64_u32 v[0:1], s[0:1], s4, v153, v[0:1]
	s_nop 0
	v_cndmask_b32_e32 v5, v18, v5, vcc
	v_cmp_ne_u32_e32 vcc, 0, v2
	v_add_u32_e32 v1, s11, v1
	s_nop 0
	v_cndmask_b32_e64 v2, 0, 1, vcc
	v_lshl_or_b32 v2, v2, 9, v18
	v_cmp_eq_u32_e32 vcc, s9, v8
	s_nop 1
	v_cndmask_b32_e32 v2, v5, v2, vcc
	v_and_or_b32 v2, v3, s10, v2
	v_bitop3_b32 v3, v7, s6, v6 bitop3:0xc8
	v_lshrrev_b32_e32 v5, 16, v4
	v_accvgpr_read_b32 v6, a2
	v_lshl_or_b32 v2, v2, 16, v3
	v_mul_f16_sdwa v3, v6, v5 dst_sel:DWORD dst_unused:UNUSED_PAD src0_sel:WORD_1 src1_sel:DWORD
	v_fma_f16 v3, v6, v4, v3
	v_cvt_f32_f16_e32 v3, v3
	global_store_dword v[0:1], v2, off
	v_mul_f16_sdwa v4, v10, v4 dst_sel:DWORD dst_unused:UNUSED_PAD src0_sel:WORD_1 src1_sel:DWORD
	v_fma_f16 v4, v10, v5, -v4
	v_cvt_f64_f32_e32 v[2:3], v3
	v_mul_f64 v[2:3], v[2:3], s[2:3]
	v_and_or_b32 v2, v3, s7, v2
	v_cmp_ne_u32_e32 vcc, 0, v2
	v_lshrrev_b32_e32 v6, 8, v3
	v_bfe_u32 v7, v3, 20, 11
	v_cndmask_b32_e64 v2, 0, 1, vcc
	v_and_or_b32 v2, v6, s8, v2
	v_sub_u32_e32 v8, 0x3f1, v7
	v_or_b32_e32 v6, 0x1000, v2
	v_med3_i32 v8, v8, 0, 13
	v_lshrrev_b32_e32 v9, v8, v6
	v_lshlrev_b32_e32 v8, v8, v9
	v_cmp_ne_u32_e32 vcc, v8, v6
	v_add_u32_e32 v7, 0xfffffc10, v7
	v_lshl_or_b32 v8, v7, 12, v2
	v_cndmask_b32_e64 v6, 0, 1, vcc
	v_or_b32_e32 v6, v9, v6
	v_cmp_gt_i32_e32 vcc, 1, v7
	v_cvt_f32_f16_e32 v4, v4
	v_accvgpr_read_b32 v10, a0
	v_cndmask_b32_e32 v6, v8, v6, vcc
	v_and_b32_e32 v8, 7, v6
	v_cmp_lt_i32_e32 vcc, 5, v8
	v_cmp_eq_u32_e64 s[0:1], 3, v8
	v_lshrrev_b32_e32 v6, 2, v6
	s_or_b64 vcc, s[0:1], vcc
	v_addc_co_u32_e32 v6, vcc, 0, v6, vcc
	v_cmp_gt_i32_e32 vcc, 31, v7
	s_nop 1
	v_cndmask_b32_e32 v6, v18, v6, vcc
	v_cmp_ne_u32_e32 vcc, 0, v2
	s_nop 1
	v_cndmask_b32_e64 v2, 0, 1, vcc
	v_lshl_or_b32 v2, v2, 9, v18
	v_cmp_eq_u32_e32 vcc, s9, v7
	s_nop 1
	v_cndmask_b32_e32 v5, v6, v2, vcc
	v_and_b32_sdwa v6, v3, s10 dst_sel:DWORD dst_unused:UNUSED_PAD src0_sel:WORD_1 src1_sel:DWORD
	v_cvt_f64_f32_e32 v[2:3], v4
	v_mul_f64 v[2:3], v[2:3], s[2:3]
	v_and_or_b32 v2, v3, s7, v2
	v_cmp_ne_u32_e32 vcc, 0, v2
	v_lshrrev_b32_e32 v4, 8, v3
	v_bfe_u32 v7, v3, 20, 11
	v_cndmask_b32_e64 v2, 0, 1, vcc
	v_and_or_b32 v2, v4, s8, v2
	v_sub_u32_e32 v8, 0x3f1, v7
	v_or_b32_e32 v4, 0x1000, v2
	v_med3_i32 v8, v8, 0, 13
	v_lshrrev_b32_e32 v9, v8, v4
	v_lshlrev_b32_e32 v8, v8, v9
	v_cmp_ne_u32_e32 vcc, v8, v4
	v_add_u32_e32 v7, 0xfffffc10, v7
	v_lshl_or_b32 v8, v7, 12, v2
	v_cndmask_b32_e64 v4, 0, 1, vcc
	v_or_b32_e32 v4, v9, v4
	v_cmp_gt_i32_e32 vcc, 1, v7
	v_lshrrev_b32_e32 v3, 16, v3
	v_accvgpr_read_b32 v9, a1
	v_cndmask_b32_e32 v4, v8, v4, vcc
	v_and_b32_e32 v8, 7, v4
	v_cmp_lt_i32_e32 vcc, 5, v8
	v_cmp_eq_u32_e64 s[0:1], 3, v8
	v_lshrrev_b32_e32 v4, 2, v4
	s_or_b64 vcc, s[0:1], vcc
	v_addc_co_u32_e32 v4, vcc, 0, v4, vcc
	v_cmp_gt_i32_e32 vcc, 31, v7
	v_mad_u64_u32 v[0:1], s[0:1], s4, v153, v[0:1]
	s_nop 0
	v_cndmask_b32_e32 v4, v18, v4, vcc
	v_cmp_ne_u32_e32 vcc, 0, v2
	v_add_u32_e32 v1, s11, v1
	s_nop 0
	v_cndmask_b32_e64 v2, 0, 1, vcc
	v_lshl_or_b32 v2, v2, 9, v18
	v_cmp_eq_u32_e32 vcc, s9, v7
	s_nop 1
	v_cndmask_b32_e32 v2, v4, v2, vcc
	v_and_or_b32 v2, v3, s10, v2
	v_bitop3_b32 v3, v6, s6, v5 bitop3:0xc8
	v_lshrrev_b32_e32 v4, 16, v11
	v_accvgpr_read_b32 v5, a1
	v_lshl_or_b32 v2, v2, 16, v3
	v_mul_f16_sdwa v3, v5, v4 dst_sel:DWORD dst_unused:UNUSED_PAD src0_sel:WORD_1 src1_sel:DWORD
	v_fma_f16 v3, v5, v11, v3
	v_cvt_f32_f16_e32 v3, v3
	global_store_dword v[0:1], v2, off
	v_cvt_f64_f32_e32 v[2:3], v3
	v_mul_f64 v[2:3], v[2:3], s[2:3]
	v_and_or_b32 v2, v3, s7, v2
	v_cmp_ne_u32_e32 vcc, 0, v2
	v_lshrrev_b32_e32 v5, 8, v3
	v_bfe_u32 v6, v3, 20, 11
	v_cndmask_b32_e64 v2, 0, 1, vcc
	v_and_or_b32 v2, v5, s8, v2
	v_sub_u32_e32 v7, 0x3f1, v6
	v_or_b32_e32 v5, 0x1000, v2
	v_med3_i32 v7, v7, 0, 13
	v_lshrrev_b32_e32 v8, v7, v5
	v_lshlrev_b32_e32 v7, v7, v8
	v_cmp_ne_u32_e32 vcc, v7, v5
	v_add_u32_e32 v6, 0xfffffc10, v6
	v_lshl_or_b32 v7, v6, 12, v2
	v_cndmask_b32_e64 v5, 0, 1, vcc
	v_or_b32_e32 v5, v8, v5
	v_cmp_gt_i32_e32 vcc, 1, v6
	s_nop 1
	v_cndmask_b32_e32 v5, v7, v5, vcc
	v_and_b32_e32 v7, 7, v5
	v_cmp_lt_i32_e32 vcc, 5, v7
	v_cmp_eq_u32_e64 s[0:1], 3, v7
	v_lshrrev_b32_e32 v5, 2, v5
	s_or_b64 vcc, s[0:1], vcc
	v_mul_f16_sdwa v7, v9, v11 dst_sel:DWORD dst_unused:UNUSED_PAD src0_sel:WORD_1 src1_sel:DWORD
	v_addc_co_u32_e32 v5, vcc, 0, v5, vcc
	v_fma_f16 v4, v9, v4, -v7
	v_cmp_gt_i32_e32 vcc, 31, v6
	v_cvt_f32_f16_e32 v4, v4
	s_nop 0
	v_cndmask_b32_e32 v5, v18, v5, vcc
	v_cmp_ne_u32_e32 vcc, 0, v2
	s_nop 1
	v_cndmask_b32_e64 v2, 0, 1, vcc
	v_lshl_or_b32 v2, v2, 9, v18
	v_cmp_eq_u32_e32 vcc, s9, v6
	v_and_b32_sdwa v6, v3, s10 dst_sel:DWORD dst_unused:UNUSED_PAD src0_sel:WORD_1 src1_sel:DWORD
	s_nop 0
	v_cndmask_b32_e32 v5, v5, v2, vcc
	v_cvt_f64_f32_e32 v[2:3], v4
	v_mul_f64 v[2:3], v[2:3], s[2:3]
	v_and_or_b32 v2, v3, s7, v2
	v_cmp_ne_u32_e32 vcc, 0, v2
	v_lshrrev_b32_e32 v4, 8, v3
	v_bfe_u32 v7, v3, 20, 11
	v_cndmask_b32_e64 v2, 0, 1, vcc
	v_and_or_b32 v2, v4, s8, v2
	v_sub_u32_e32 v8, 0x3f1, v7
	v_or_b32_e32 v4, 0x1000, v2
	v_med3_i32 v8, v8, 0, 13
	v_lshrrev_b32_e32 v9, v8, v4
	v_lshlrev_b32_e32 v8, v8, v9
	v_cmp_ne_u32_e32 vcc, v8, v4
	v_add_u32_e32 v7, 0xfffffc10, v7
	v_lshl_or_b32 v8, v7, 12, v2
	v_cndmask_b32_e64 v4, 0, 1, vcc
	v_or_b32_e32 v4, v9, v4
	v_cmp_gt_i32_e32 vcc, 1, v7
	v_lshrrev_b32_e32 v3, 16, v3
	s_nop 0
	v_cndmask_b32_e32 v4, v8, v4, vcc
	v_and_b32_e32 v8, 7, v4
	v_cmp_lt_i32_e32 vcc, 5, v8
	v_cmp_eq_u32_e64 s[0:1], 3, v8
	v_lshrrev_b32_e32 v4, 2, v4
	s_or_b64 vcc, s[0:1], vcc
	v_addc_co_u32_e32 v4, vcc, 0, v4, vcc
	v_cmp_gt_i32_e32 vcc, 31, v7
	v_mad_u64_u32 v[0:1], s[0:1], s4, v153, v[0:1]
	s_nop 0
	v_cndmask_b32_e32 v4, v18, v4, vcc
	v_cmp_ne_u32_e32 vcc, 0, v2
	v_add_u32_e32 v1, s11, v1
	s_nop 0
	v_cndmask_b32_e64 v2, 0, 1, vcc
	v_lshl_or_b32 v2, v2, 9, v18
	v_cmp_eq_u32_e32 vcc, s9, v7
	s_nop 1
	v_cndmask_b32_e32 v2, v4, v2, vcc
	ds_read_b32 v4, v132 offset:9408
	v_and_or_b32 v2, v3, s10, v2
	v_bitop3_b32 v3, v6, s6, v5 bitop3:0xc8
	v_accvgpr_read_b32 v6, a0
	v_lshl_or_b32 v2, v2, 16, v3
	s_waitcnt lgkmcnt(0)
	v_lshrrev_b32_e32 v5, 16, v4
	v_mul_f16_sdwa v3, v6, v5 dst_sel:DWORD dst_unused:UNUSED_PAD src0_sel:WORD_1 src1_sel:DWORD
	v_fma_f16 v3, v6, v4, v3
	v_cvt_f32_f16_e32 v3, v3
	global_store_dword v[0:1], v2, off
	v_mul_f16_sdwa v4, v10, v4 dst_sel:DWORD dst_unused:UNUSED_PAD src0_sel:WORD_1 src1_sel:DWORD
	v_fma_f16 v4, v10, v5, -v4
	v_cvt_f64_f32_e32 v[2:3], v3
	v_mul_f64 v[2:3], v[2:3], s[2:3]
	v_and_or_b32 v2, v3, s7, v2
	v_cmp_ne_u32_e32 vcc, 0, v2
	v_lshrrev_b32_e32 v6, 8, v3
	v_bfe_u32 v7, v3, 20, 11
	v_cndmask_b32_e64 v2, 0, 1, vcc
	v_and_or_b32 v2, v6, s8, v2
	v_sub_u32_e32 v8, 0x3f1, v7
	v_or_b32_e32 v6, 0x1000, v2
	v_med3_i32 v8, v8, 0, 13
	v_lshrrev_b32_e32 v9, v8, v6
	v_lshlrev_b32_e32 v8, v8, v9
	v_cmp_ne_u32_e32 vcc, v8, v6
	v_add_u32_e32 v7, 0xfffffc10, v7
	v_lshl_or_b32 v8, v7, 12, v2
	v_cndmask_b32_e64 v6, 0, 1, vcc
	v_or_b32_e32 v6, v9, v6
	v_cmp_gt_i32_e32 vcc, 1, v7
	v_cvt_f32_f16_e32 v4, v4
	s_nop 0
	v_cndmask_b32_e32 v6, v8, v6, vcc
	v_and_b32_e32 v8, 7, v6
	v_cmp_lt_i32_e32 vcc, 5, v8
	v_cmp_eq_u32_e64 s[0:1], 3, v8
	v_lshrrev_b32_e32 v6, 2, v6
	s_or_b64 vcc, s[0:1], vcc
	v_addc_co_u32_e32 v6, vcc, 0, v6, vcc
	v_cmp_gt_i32_e32 vcc, 31, v7
	s_nop 1
	v_cndmask_b32_e32 v6, v18, v6, vcc
	v_cmp_ne_u32_e32 vcc, 0, v2
	s_nop 1
	v_cndmask_b32_e64 v2, 0, 1, vcc
	v_lshl_or_b32 v2, v2, 9, v18
	v_cmp_eq_u32_e32 vcc, s9, v7
	s_nop 1
	v_cndmask_b32_e32 v5, v6, v2, vcc
	v_and_b32_sdwa v6, v3, s10 dst_sel:DWORD dst_unused:UNUSED_PAD src0_sel:WORD_1 src1_sel:DWORD
	v_cvt_f64_f32_e32 v[2:3], v4
	v_mul_f64 v[2:3], v[2:3], s[2:3]
	v_and_or_b32 v2, v3, s7, v2
	v_cmp_ne_u32_e32 vcc, 0, v2
	v_lshrrev_b32_e32 v4, 8, v3
	v_bfe_u32 v7, v3, 20, 11
	v_cndmask_b32_e64 v2, 0, 1, vcc
	v_and_or_b32 v2, v4, s8, v2
	v_sub_u32_e32 v8, 0x3f1, v7
	v_or_b32_e32 v4, 0x1000, v2
	v_med3_i32 v8, v8, 0, 13
	v_lshrrev_b32_e32 v9, v8, v4
	v_lshlrev_b32_e32 v8, v8, v9
	v_cmp_ne_u32_e32 vcc, v8, v4
	v_add_u32_e32 v7, 0xfffffc10, v7
	v_lshl_or_b32 v8, v7, 12, v2
	v_cndmask_b32_e64 v4, 0, 1, vcc
	v_or_b32_e32 v4, v9, v4
	v_cmp_gt_i32_e32 vcc, 1, v7
	v_lshrrev_b32_e32 v3, 16, v3
	s_nop 0
	v_cndmask_b32_e32 v4, v8, v4, vcc
	v_and_b32_e32 v8, 7, v4
	v_cmp_lt_i32_e32 vcc, 5, v8
	v_cmp_eq_u32_e64 s[0:1], 3, v8
	v_lshrrev_b32_e32 v4, 2, v4
	s_or_b64 vcc, s[0:1], vcc
	v_addc_co_u32_e32 v4, vcc, 0, v4, vcc
	v_cmp_gt_i32_e32 vcc, 31, v7
	v_mad_u64_u32 v[0:1], s[0:1], s4, v153, v[0:1]
	s_nop 0
	v_cndmask_b32_e32 v4, v18, v4, vcc
	v_cmp_ne_u32_e32 vcc, 0, v2
	v_add_u32_e32 v1, s11, v1
	s_nop 0
	v_cndmask_b32_e64 v2, 0, 1, vcc
	v_lshl_or_b32 v2, v2, 9, v18
	v_cmp_eq_u32_e32 vcc, s9, v7
	s_nop 1
	v_cndmask_b32_e32 v2, v4, v2, vcc
	v_and_or_b32 v2, v3, s10, v2
	v_bitop3_b32 v3, v6, s6, v5 bitop3:0xc8
	v_lshl_or_b32 v2, v2, 16, v3
	global_store_dword v[0:1], v2, off
.LBB0_2:
	s_endpgm
	.section	.rodata,"a",@progbits
	.p2align	6, 0x0
	.amdhsa_kernel bluestein_single_fwd_len2401_dim1_half_op_CI_CI
		.amdhsa_group_segment_fixed_size 9604
		.amdhsa_private_segment_fixed_size 0
		.amdhsa_kernarg_size 104
		.amdhsa_user_sgpr_count 2
		.amdhsa_user_sgpr_dispatch_ptr 0
		.amdhsa_user_sgpr_queue_ptr 0
		.amdhsa_user_sgpr_kernarg_segment_ptr 1
		.amdhsa_user_sgpr_dispatch_id 0
		.amdhsa_user_sgpr_kernarg_preload_length 0
		.amdhsa_user_sgpr_kernarg_preload_offset 0
		.amdhsa_user_sgpr_private_segment_size 0
		.amdhsa_uses_dynamic_stack 0
		.amdhsa_enable_private_segment 0
		.amdhsa_system_sgpr_workgroup_id_x 1
		.amdhsa_system_sgpr_workgroup_id_y 0
		.amdhsa_system_sgpr_workgroup_id_z 0
		.amdhsa_system_sgpr_workgroup_info 0
		.amdhsa_system_vgpr_workitem_id 0
		.amdhsa_next_free_vgpr 319
		.amdhsa_next_free_sgpr 16
		.amdhsa_accum_offset 256
		.amdhsa_reserve_vcc 1
		.amdhsa_float_round_mode_32 0
		.amdhsa_float_round_mode_16_64 0
		.amdhsa_float_denorm_mode_32 3
		.amdhsa_float_denorm_mode_16_64 3
		.amdhsa_dx10_clamp 1
		.amdhsa_ieee_mode 1
		.amdhsa_fp16_overflow 0
		.amdhsa_tg_split 0
		.amdhsa_exception_fp_ieee_invalid_op 0
		.amdhsa_exception_fp_denorm_src 0
		.amdhsa_exception_fp_ieee_div_zero 0
		.amdhsa_exception_fp_ieee_overflow 0
		.amdhsa_exception_fp_ieee_underflow 0
		.amdhsa_exception_fp_ieee_inexact 0
		.amdhsa_exception_int_div_zero 0
	.end_amdhsa_kernel
	.text
.Lfunc_end0:
	.size	bluestein_single_fwd_len2401_dim1_half_op_CI_CI, .Lfunc_end0-bluestein_single_fwd_len2401_dim1_half_op_CI_CI
                                        ; -- End function
	.section	.AMDGPU.csdata,"",@progbits
; Kernel info:
; codeLenInByte = 76628
; NumSgprs: 22
; NumVgprs: 256
; NumAgprs: 63
; TotalNumVgprs: 319
; ScratchSize: 0
; MemoryBound: 0
; FloatMode: 240
; IeeeMode: 1
; LDSByteSize: 9604 bytes/workgroup (compile time only)
; SGPRBlocks: 2
; VGPRBlocks: 39
; NumSGPRsForWavesPerEU: 22
; NumVGPRsForWavesPerEU: 319
; AccumOffset: 256
; Occupancy: 1
; WaveLimiterHint : 1
; COMPUTE_PGM_RSRC2:SCRATCH_EN: 0
; COMPUTE_PGM_RSRC2:USER_SGPR: 2
; COMPUTE_PGM_RSRC2:TRAP_HANDLER: 0
; COMPUTE_PGM_RSRC2:TGID_X_EN: 1
; COMPUTE_PGM_RSRC2:TGID_Y_EN: 0
; COMPUTE_PGM_RSRC2:TGID_Z_EN: 0
; COMPUTE_PGM_RSRC2:TIDIG_COMP_CNT: 0
; COMPUTE_PGM_RSRC3_GFX90A:ACCUM_OFFSET: 63
; COMPUTE_PGM_RSRC3_GFX90A:TG_SPLIT: 0
	.text
	.p2alignl 6, 3212836864
	.fill 256, 4, 3212836864
	.type	__hip_cuid_3637e596d4020831,@object ; @__hip_cuid_3637e596d4020831
	.section	.bss,"aw",@nobits
	.globl	__hip_cuid_3637e596d4020831
__hip_cuid_3637e596d4020831:
	.byte	0                               ; 0x0
	.size	__hip_cuid_3637e596d4020831, 1

	.ident	"AMD clang version 19.0.0git (https://github.com/RadeonOpenCompute/llvm-project roc-6.4.0 25133 c7fe45cf4b819c5991fe208aaa96edf142730f1d)"
	.section	".note.GNU-stack","",@progbits
	.addrsig
	.addrsig_sym __hip_cuid_3637e596d4020831
	.amdgpu_metadata
---
amdhsa.kernels:
  - .agpr_count:     63
    .args:
      - .actual_access:  read_only
        .address_space:  global
        .offset:         0
        .size:           8
        .value_kind:     global_buffer
      - .actual_access:  read_only
        .address_space:  global
        .offset:         8
        .size:           8
        .value_kind:     global_buffer
      - .actual_access:  read_only
        .address_space:  global
        .offset:         16
        .size:           8
        .value_kind:     global_buffer
      - .actual_access:  read_only
        .address_space:  global
        .offset:         24
        .size:           8
        .value_kind:     global_buffer
      - .actual_access:  read_only
        .address_space:  global
        .offset:         32
        .size:           8
        .value_kind:     global_buffer
      - .offset:         40
        .size:           8
        .value_kind:     by_value
      - .address_space:  global
        .offset:         48
        .size:           8
        .value_kind:     global_buffer
      - .address_space:  global
        .offset:         56
        .size:           8
        .value_kind:     global_buffer
      - .address_space:  global
        .offset:         64
        .size:           8
        .value_kind:     global_buffer
      - .address_space:  global
        .offset:         72
        .size:           8
        .value_kind:     global_buffer
      - .offset:         80
        .size:           4
        .value_kind:     by_value
      - .address_space:  global
        .offset:         88
        .size:           8
        .value_kind:     global_buffer
      - .address_space:  global
        .offset:         96
        .size:           8
        .value_kind:     global_buffer
    .group_segment_fixed_size: 9604
    .kernarg_segment_align: 8
    .kernarg_segment_size: 104
    .language:       OpenCL C
    .language_version:
      - 2
      - 0
    .max_flat_workgroup_size: 49
    .name:           bluestein_single_fwd_len2401_dim1_half_op_CI_CI
    .private_segment_fixed_size: 0
    .sgpr_count:     22
    .sgpr_spill_count: 0
    .symbol:         bluestein_single_fwd_len2401_dim1_half_op_CI_CI.kd
    .uniform_work_group_size: 1
    .uses_dynamic_stack: false
    .vgpr_count:     319
    .vgpr_spill_count: 0
    .wavefront_size: 64
amdhsa.target:   amdgcn-amd-amdhsa--gfx950
amdhsa.version:
  - 1
  - 2
...

	.end_amdgpu_metadata
